;; amdgpu-corpus repo=ROCm/rocFFT kind=compiled arch=gfx1030 opt=O3
	.text
	.amdgcn_target "amdgcn-amd-amdhsa--gfx1030"
	.amdhsa_code_object_version 6
	.protected	fft_rtc_fwd_len1632_factors_17_2_2_3_8_wgs_102_tpt_102_halfLds_sp_ip_CI_unitstride_sbrr_R2C_dirReg ; -- Begin function fft_rtc_fwd_len1632_factors_17_2_2_3_8_wgs_102_tpt_102_halfLds_sp_ip_CI_unitstride_sbrr_R2C_dirReg
	.globl	fft_rtc_fwd_len1632_factors_17_2_2_3_8_wgs_102_tpt_102_halfLds_sp_ip_CI_unitstride_sbrr_R2C_dirReg
	.p2align	8
	.type	fft_rtc_fwd_len1632_factors_17_2_2_3_8_wgs_102_tpt_102_halfLds_sp_ip_CI_unitstride_sbrr_R2C_dirReg,@function
fft_rtc_fwd_len1632_factors_17_2_2_3_8_wgs_102_tpt_102_halfLds_sp_ip_CI_unitstride_sbrr_R2C_dirReg: ; @fft_rtc_fwd_len1632_factors_17_2_2_3_8_wgs_102_tpt_102_halfLds_sp_ip_CI_unitstride_sbrr_R2C_dirReg
; %bb.0:
	s_clause 0x2
	s_load_dwordx4 s[8:11], s[4:5], 0x0
	s_load_dwordx2 s[2:3], s[4:5], 0x50
	s_load_dwordx2 s[12:13], s[4:5], 0x18
	v_mul_u32_u24_e32 v1, 0x283, v0
	v_mov_b32_e32 v3, 0
	v_add_nc_u32_sdwa v5, s6, v1 dst_sel:DWORD dst_unused:UNUSED_PAD src0_sel:DWORD src1_sel:WORD_1
	v_mov_b32_e32 v1, 0
	v_mov_b32_e32 v6, v3
	v_mov_b32_e32 v2, 0
	s_waitcnt lgkmcnt(0)
	v_cmp_lt_u64_e64 s0, s[10:11], 2
	s_and_b32 vcc_lo, exec_lo, s0
	s_cbranch_vccnz .LBB0_8
; %bb.1:
	s_load_dwordx2 s[0:1], s[4:5], 0x10
	v_mov_b32_e32 v1, 0
	s_add_u32 s6, s12, 8
	v_mov_b32_e32 v2, 0
	s_addc_u32 s7, s13, 0
	s_mov_b64 s[16:17], 1
	s_waitcnt lgkmcnt(0)
	s_add_u32 s14, s0, 8
	s_addc_u32 s15, s1, 0
.LBB0_2:                                ; =>This Inner Loop Header: Depth=1
	s_load_dwordx2 s[18:19], s[14:15], 0x0
                                        ; implicit-def: $vgpr7_vgpr8
	s_mov_b32 s0, exec_lo
	s_waitcnt lgkmcnt(0)
	v_or_b32_e32 v4, s19, v6
	v_cmpx_ne_u64_e32 0, v[3:4]
	s_xor_b32 s1, exec_lo, s0
	s_cbranch_execz .LBB0_4
; %bb.3:                                ;   in Loop: Header=BB0_2 Depth=1
	v_cvt_f32_u32_e32 v4, s18
	v_cvt_f32_u32_e32 v7, s19
	s_sub_u32 s0, 0, s18
	s_subb_u32 s20, 0, s19
	v_fmac_f32_e32 v4, 0x4f800000, v7
	v_rcp_f32_e32 v4, v4
	v_mul_f32_e32 v4, 0x5f7ffffc, v4
	v_mul_f32_e32 v7, 0x2f800000, v4
	v_trunc_f32_e32 v7, v7
	v_fmac_f32_e32 v4, 0xcf800000, v7
	v_cvt_u32_f32_e32 v7, v7
	v_cvt_u32_f32_e32 v4, v4
	v_mul_lo_u32 v8, s0, v7
	v_mul_hi_u32 v9, s0, v4
	v_mul_lo_u32 v10, s20, v4
	v_add_nc_u32_e32 v8, v9, v8
	v_mul_lo_u32 v9, s0, v4
	v_add_nc_u32_e32 v8, v8, v10
	v_mul_hi_u32 v10, v4, v9
	v_mul_lo_u32 v11, v4, v8
	v_mul_hi_u32 v12, v4, v8
	v_mul_hi_u32 v13, v7, v9
	v_mul_lo_u32 v9, v7, v9
	v_mul_hi_u32 v14, v7, v8
	v_mul_lo_u32 v8, v7, v8
	v_add_co_u32 v10, vcc_lo, v10, v11
	v_add_co_ci_u32_e32 v11, vcc_lo, 0, v12, vcc_lo
	v_add_co_u32 v9, vcc_lo, v10, v9
	v_add_co_ci_u32_e32 v9, vcc_lo, v11, v13, vcc_lo
	v_add_co_ci_u32_e32 v10, vcc_lo, 0, v14, vcc_lo
	v_add_co_u32 v8, vcc_lo, v9, v8
	v_add_co_ci_u32_e32 v9, vcc_lo, 0, v10, vcc_lo
	v_add_co_u32 v4, vcc_lo, v4, v8
	v_add_co_ci_u32_e32 v7, vcc_lo, v7, v9, vcc_lo
	v_mul_hi_u32 v8, s0, v4
	v_mul_lo_u32 v10, s20, v4
	v_mul_lo_u32 v9, s0, v7
	v_add_nc_u32_e32 v8, v8, v9
	v_mul_lo_u32 v9, s0, v4
	v_add_nc_u32_e32 v8, v8, v10
	v_mul_hi_u32 v10, v4, v9
	v_mul_lo_u32 v11, v4, v8
	v_mul_hi_u32 v12, v4, v8
	v_mul_hi_u32 v13, v7, v9
	v_mul_lo_u32 v9, v7, v9
	v_mul_hi_u32 v14, v7, v8
	v_mul_lo_u32 v8, v7, v8
	v_add_co_u32 v10, vcc_lo, v10, v11
	v_add_co_ci_u32_e32 v11, vcc_lo, 0, v12, vcc_lo
	v_add_co_u32 v9, vcc_lo, v10, v9
	v_add_co_ci_u32_e32 v9, vcc_lo, v11, v13, vcc_lo
	v_add_co_ci_u32_e32 v10, vcc_lo, 0, v14, vcc_lo
	v_add_co_u32 v8, vcc_lo, v9, v8
	v_add_co_ci_u32_e32 v9, vcc_lo, 0, v10, vcc_lo
	v_add_co_u32 v4, vcc_lo, v4, v8
	v_add_co_ci_u32_e32 v11, vcc_lo, v7, v9, vcc_lo
	v_mul_hi_u32 v13, v5, v4
	v_mad_u64_u32 v[9:10], null, v6, v4, 0
	v_mad_u64_u32 v[7:8], null, v5, v11, 0
	;; [unrolled: 1-line block ×3, first 2 shown]
	v_add_co_u32 v4, vcc_lo, v13, v7
	v_add_co_ci_u32_e32 v7, vcc_lo, 0, v8, vcc_lo
	v_add_co_u32 v4, vcc_lo, v4, v9
	v_add_co_ci_u32_e32 v4, vcc_lo, v7, v10, vcc_lo
	v_add_co_ci_u32_e32 v7, vcc_lo, 0, v12, vcc_lo
	v_add_co_u32 v4, vcc_lo, v4, v11
	v_add_co_ci_u32_e32 v9, vcc_lo, 0, v7, vcc_lo
	v_mul_lo_u32 v10, s19, v4
	v_mad_u64_u32 v[7:8], null, s18, v4, 0
	v_mul_lo_u32 v11, s18, v9
	v_sub_co_u32 v7, vcc_lo, v5, v7
	v_add3_u32 v8, v8, v11, v10
	v_sub_nc_u32_e32 v10, v6, v8
	v_subrev_co_ci_u32_e64 v10, s0, s19, v10, vcc_lo
	v_add_co_u32 v11, s0, v4, 2
	v_add_co_ci_u32_e64 v12, s0, 0, v9, s0
	v_sub_co_u32 v13, s0, v7, s18
	v_sub_co_ci_u32_e32 v8, vcc_lo, v6, v8, vcc_lo
	v_subrev_co_ci_u32_e64 v10, s0, 0, v10, s0
	v_cmp_le_u32_e32 vcc_lo, s18, v13
	v_cmp_eq_u32_e64 s0, s19, v8
	v_cndmask_b32_e64 v13, 0, -1, vcc_lo
	v_cmp_le_u32_e32 vcc_lo, s19, v10
	v_cndmask_b32_e64 v14, 0, -1, vcc_lo
	v_cmp_le_u32_e32 vcc_lo, s18, v7
	;; [unrolled: 2-line block ×3, first 2 shown]
	v_cndmask_b32_e64 v15, 0, -1, vcc_lo
	v_cmp_eq_u32_e32 vcc_lo, s19, v10
	v_cndmask_b32_e64 v7, v15, v7, s0
	v_cndmask_b32_e32 v10, v14, v13, vcc_lo
	v_add_co_u32 v13, vcc_lo, v4, 1
	v_add_co_ci_u32_e32 v14, vcc_lo, 0, v9, vcc_lo
	v_cmp_ne_u32_e32 vcc_lo, 0, v10
	v_cndmask_b32_e32 v8, v14, v12, vcc_lo
	v_cndmask_b32_e32 v10, v13, v11, vcc_lo
	v_cmp_ne_u32_e32 vcc_lo, 0, v7
	v_cndmask_b32_e32 v8, v9, v8, vcc_lo
	v_cndmask_b32_e32 v7, v4, v10, vcc_lo
.LBB0_4:                                ;   in Loop: Header=BB0_2 Depth=1
	s_andn2_saveexec_b32 s0, s1
	s_cbranch_execz .LBB0_6
; %bb.5:                                ;   in Loop: Header=BB0_2 Depth=1
	v_cvt_f32_u32_e32 v4, s18
	s_sub_i32 s1, 0, s18
	v_rcp_iflag_f32_e32 v4, v4
	v_mul_f32_e32 v4, 0x4f7ffffe, v4
	v_cvt_u32_f32_e32 v4, v4
	v_mul_lo_u32 v7, s1, v4
	v_mul_hi_u32 v7, v4, v7
	v_add_nc_u32_e32 v4, v4, v7
	v_mul_hi_u32 v4, v5, v4
	v_mul_lo_u32 v7, v4, s18
	v_add_nc_u32_e32 v8, 1, v4
	v_sub_nc_u32_e32 v7, v5, v7
	v_subrev_nc_u32_e32 v9, s18, v7
	v_cmp_le_u32_e32 vcc_lo, s18, v7
	v_cndmask_b32_e32 v7, v7, v9, vcc_lo
	v_cndmask_b32_e32 v4, v4, v8, vcc_lo
	v_cmp_le_u32_e32 vcc_lo, s18, v7
	v_add_nc_u32_e32 v8, 1, v4
	v_cndmask_b32_e32 v7, v4, v8, vcc_lo
	v_mov_b32_e32 v8, v3
.LBB0_6:                                ;   in Loop: Header=BB0_2 Depth=1
	s_or_b32 exec_lo, exec_lo, s0
	s_load_dwordx2 s[0:1], s[6:7], 0x0
	v_mul_lo_u32 v4, v8, s18
	v_mul_lo_u32 v11, v7, s19
	v_mad_u64_u32 v[9:10], null, v7, s18, 0
	s_add_u32 s16, s16, 1
	s_addc_u32 s17, s17, 0
	s_add_u32 s6, s6, 8
	s_addc_u32 s7, s7, 0
	;; [unrolled: 2-line block ×3, first 2 shown]
	v_add3_u32 v4, v10, v11, v4
	v_sub_co_u32 v5, vcc_lo, v5, v9
	v_sub_co_ci_u32_e32 v4, vcc_lo, v6, v4, vcc_lo
	s_waitcnt lgkmcnt(0)
	v_mul_lo_u32 v6, s1, v5
	v_mul_lo_u32 v4, s0, v4
	v_mad_u64_u32 v[1:2], null, s0, v5, v[1:2]
	v_cmp_ge_u64_e64 s0, s[16:17], s[10:11]
	s_and_b32 vcc_lo, exec_lo, s0
	v_add3_u32 v2, v6, v2, v4
	s_cbranch_vccnz .LBB0_9
; %bb.7:                                ;   in Loop: Header=BB0_2 Depth=1
	v_mov_b32_e32 v5, v7
	v_mov_b32_e32 v6, v8
	s_branch .LBB0_2
.LBB0_8:
	v_mov_b32_e32 v8, v6
	v_mov_b32_e32 v7, v5
.LBB0_9:
	s_lshl_b64 s[0:1], s[10:11], 3
	v_mul_hi_u32 v3, 0x2828283, v0
	s_add_u32 s0, s12, s0
	s_addc_u32 s1, s13, s1
	s_load_dwordx2 s[0:1], s[0:1], 0x0
	s_load_dwordx2 s[4:5], s[4:5], 0x20
	v_mul_u32_u24_e32 v3, 0x66, v3
	v_sub_nc_u32_e32 v32, v0, v3
	v_lshl_add_u32 v42, v32, 3, 0
	s_waitcnt lgkmcnt(0)
	v_mul_lo_u32 v4, s0, v8
	v_mul_lo_u32 v5, s1, v7
	v_mad_u64_u32 v[1:2], null, s0, v7, v[1:2]
	v_cmp_gt_u64_e32 vcc_lo, s[4:5], v[7:8]
	v_add3_u32 v2, v5, v2, v4
	v_lshlrev_b64 v[34:35], 3, v[1:2]
	s_and_saveexec_b32 s1, vcc_lo
	s_cbranch_execz .LBB0_11
; %bb.10:
	v_mov_b32_e32 v33, 0
	v_add_co_u32 v2, s0, s2, v34
	v_add_co_ci_u32_e64 v3, s0, s3, v35, s0
	v_lshlrev_b64 v[0:1], 3, v[32:33]
	v_add_nc_u32_e32 v33, 0x400, v42
	v_add_nc_u32_e32 v36, 0x800, v42
	;; [unrolled: 1-line block ×5, first 2 shown]
	v_add_co_u32 v0, s0, v2, v0
	v_add_co_ci_u32_e64 v1, s0, v3, v1, s0
	v_add_nc_u32_e32 v40, 0x2400, v42
	v_add_co_u32 v2, s0, 0x800, v0
	v_add_co_ci_u32_e64 v3, s0, 0, v1, s0
	v_add_co_u32 v4, s0, 0x1000, v0
	v_add_co_ci_u32_e64 v5, s0, 0, v1, s0
	;; [unrolled: 2-line block ×4, first 2 shown]
	s_clause 0x7
	global_load_dwordx2 v[6:7], v[0:1], off
	global_load_dwordx2 v[8:9], v[0:1], off offset:816
	global_load_dwordx2 v[10:11], v[0:1], off offset:1632
	global_load_dwordx2 v[12:13], v[2:3], off offset:400
	global_load_dwordx2 v[14:15], v[2:3], off offset:1216
	global_load_dwordx2 v[2:3], v[2:3], off offset:2032
	global_load_dwordx2 v[16:17], v[4:5], off offset:800
	global_load_dwordx2 v[4:5], v[4:5], off offset:1616
	v_add_co_u32 v0, s0, 0x2800, v0
	v_add_co_ci_u32_e64 v1, s0, 0, v1, s0
	s_clause 0x7
	global_load_dwordx2 v[22:23], v[18:19], off offset:384
	global_load_dwordx2 v[24:25], v[18:19], off offset:1200
	global_load_dwordx2 v[18:19], v[18:19], off offset:2016
	global_load_dwordx2 v[26:27], v[20:21], off offset:784
	global_load_dwordx2 v[20:21], v[20:21], off offset:1600
	global_load_dwordx2 v[28:29], v[0:1], off offset:368
	global_load_dwordx2 v[30:31], v[0:1], off offset:1184
	global_load_dwordx2 v[0:1], v[0:1], off offset:2000
	v_add_nc_u32_e32 v41, 0x2800, v42
	s_waitcnt vmcnt(14)
	ds_write2_b64 v42, v[6:7], v[8:9] offset1:102
	s_waitcnt vmcnt(12)
	ds_write2_b64 v33, v[10:11], v[12:13] offset0:76 offset1:178
	s_waitcnt vmcnt(10)
	ds_write2_b64 v36, v[14:15], v[2:3] offset0:152 offset1:254
	;; [unrolled: 2-line block ×7, first 2 shown]
.LBB0_11:
	s_or_b32 exec_lo, exec_lo, s1
	s_waitcnt lgkmcnt(0)
	s_barrier
	buffer_gl0_inv
	ds_read2_b64 v[0:3], v42 offset1:96
	ds_read_b64 v[38:39], v42 offset:12288
	v_add_nc_u32_e32 v43, 0x400, v42
	v_add_nc_u32_e32 v33, 0x2800, v42
	ds_read2_b64 v[28:31], v43 offset0:64 offset1:160
	ds_read2_b64 v[4:7], v33 offset0:64 offset1:160
	v_add_nc_u32_e32 v46, 0x800, v42
	v_add_nc_u32_e32 v44, 0x2000, v42
	ds_read2_b64 v[24:27], v46 offset0:128 offset1:224
	ds_read2_b64 v[8:11], v44 offset0:128 offset1:224
	v_add_nc_u32_e32 v45, 0x1000, v42
	v_add_nc_u32_e32 v48, 0x1c00, v42
	;; [unrolled: 1-line block ×3, first 2 shown]
	s_mov_b32 s1, exec_lo
	s_waitcnt lgkmcnt(4)
	v_sub_f32_e32 v70, v3, v39
	v_sub_f32_e32 v79, v2, v38
	v_add_f32_e32 v49, v38, v2
	v_add_f32_e32 v55, v39, v3
	v_mul_f32_e32 v58, 0xbeb8f4ab, v70
	v_mul_f32_e32 v60, 0xbeb8f4ab, v79
	s_waitcnt lgkmcnt(2)
	v_sub_f32_e32 v73, v29, v7
	v_add_f32_e32 v50, v6, v28
	v_sub_f32_e32 v80, v28, v6
	v_sub_f32_e32 v74, v31, v5
	v_fmamk_f32 v12, v49, 0x3f6eb680, v58
	v_mul_f32_e32 v66, 0xbf2c7751, v73
	v_fma_f32 v13, 0x3f6eb680, v55, -v60
	v_add_f32_e32 v52, v7, v29
	v_add_f32_e32 v51, v4, v30
	v_sub_f32_e32 v77, v30, v4
	s_waitcnt lgkmcnt(0)
	v_sub_f32_e32 v75, v25, v11
	v_mul_f32_e32 v69, 0xbf2c7751, v80
	v_mul_f32_e32 v61, 0xbf65296c, v74
	v_add_f32_e32 v20, v0, v12
	v_fmamk_f32 v21, v50, 0x3f3d2fb0, v66
	v_add_f32_e32 v22, v1, v13
	ds_read2_b64 v[16:19], v45 offset0:64 offset1:160
	ds_read2_b64 v[12:15], v48 offset0:64 offset1:160
	v_add_f32_e32 v54, v5, v31
	v_add_f32_e32 v53, v10, v24
	v_mul_f32_e32 v76, 0xbf65296c, v77
	v_fma_f32 v23, 0x3f3d2fb0, v52, -v69
	v_fmamk_f32 v36, v51, 0x3ee437d1, v61
	v_add_f32_e32 v20, v21, v20
	v_mul_f32_e32 v71, 0xbf7ee86f, v75
	v_fma_f32 v21, 0x3ee437d1, v54, -v76
	v_add_f32_e32 v22, v23, v22
	v_sub_f32_e32 v90, v24, v10
	v_add_f32_e32 v20, v36, v20
	v_fmamk_f32 v23, v53, 0x3dbcf732, v71
	v_sub_f32_e32 v89, v27, v9
	v_add_f32_e32 v36, v21, v22
	v_add_f32_e32 v57, v11, v25
	v_mul_f32_e32 v78, 0xbf7ee86f, v90
	v_add_f32_e32 v40, v23, v20
	ds_read2_b64 v[20:23], v47 offset1:96
	v_add_f32_e32 v56, v8, v26
	v_mul_f32_e32 v72, 0xbf763a35, v89
	v_sub_f32_e32 v92, v26, v8
	s_waitcnt lgkmcnt(1)
	v_sub_f32_e32 v94, v17, v15
	v_fma_f32 v37, 0x3dbcf732, v57, -v78
	v_add_f32_e32 v62, v9, v27
	v_fmamk_f32 v41, v56, 0xbe8c1d8e, v72
	v_mul_f32_e32 v85, 0xbf763a35, v92
	v_add_f32_e32 v59, v14, v16
	v_mul_f32_e32 v81, 0xbf4c4adb, v94
	v_sub_f32_e32 v95, v16, v14
	v_add_f32_e32 v36, v37, v36
	v_fma_f32 v37, 0xbe8c1d8e, v62, -v85
	v_add_f32_e32 v40, v41, v40
	v_fmamk_f32 v41, v59, 0xbf1a4643, v81
	v_add_f32_e32 v64, v15, v17
	v_mul_f32_e32 v86, 0xbf4c4adb, v95
	v_sub_f32_e32 v93, v19, v13
	v_sub_f32_e32 v96, v18, v12
	v_add_f32_e32 v36, v37, v36
	v_add_f32_e32 v37, v41, v40
	v_fma_f32 v40, 0xbf1a4643, v64, -v86
	v_add_f32_e32 v63, v12, v18
	v_mul_f32_e32 v82, 0xbf06c442, v93
	v_add_f32_e32 v65, v13, v19
	v_mul_f32_e32 v83, 0xbf06c442, v96
	s_waitcnt lgkmcnt(0)
	v_sub_f32_e32 v88, v21, v23
	v_sub_f32_e32 v91, v20, v22
	v_add_f32_e32 v36, v40, v36
	v_fmamk_f32 v40, v63, 0xbf59a7d5, v82
	v_fma_f32 v41, 0xbf59a7d5, v65, -v83
	v_add_f32_e32 v67, v22, v20
	v_mul_f32_e32 v84, 0xbe3c28d5, v88
	v_add_f32_e32 v68, v23, v21
	v_mul_f32_e32 v87, 0xbe3c28d5, v91
	v_add_f32_e32 v37, v40, v37
	v_add_f32_e32 v40, v41, v36
	v_fmamk_f32 v36, v67, 0xbf7ba420, v84
	v_fma_f32 v41, 0xbf7ba420, v68, -v87
	s_barrier
	buffer_gl0_inv
	v_add_f32_e32 v36, v36, v37
	v_add_f32_e32 v37, v41, v40
	v_cmpx_gt_u32_e32 0x60, v32
	s_cbranch_execz .LBB0_13
; %bb.12:
	v_mul_f32_e32 v105, 0x3ee437d1, v55
	v_mul_f32_e32 v103, 0xbf1a4643, v52
	;; [unrolled: 1-line block ×5, first 2 shown]
	v_fmamk_f32 v40, v79, 0x3f65296c, v105
	v_fmamk_f32 v41, v80, 0x3f4c4adb, v103
	;; [unrolled: 1-line block ×3, first 2 shown]
	v_mul_f32_e32 v100, 0xbe8c1d8e, v57
	v_mul_f32_e32 v106, 0x3e3c28d5, v74
	v_add_f32_e32 v40, v1, v40
	v_fmamk_f32 v102, v77, 0xbe3c28d5, v101
	v_fmamk_f32 v110, v50, 0xbf1a4643, v108
	v_add_f32_e32 v111, v0, v104
	v_add_f32_e32 v3, v1, v3
	;; [unrolled: 1-line block ×3, first 2 shown]
	v_mul_f32_e32 v99, 0x3f3d2fb0, v62
	v_mul_f32_e32 v107, 0x3f763a35, v75
	v_fmamk_f32 v41, v90, 0xbf763a35, v100
	v_fmamk_f32 v113, v51, 0xbf7ba420, v106
	v_add_f32_e32 v40, v102, v40
	v_add_f32_e32 v110, v110, v111
	;; [unrolled: 1-line block ×3, first 2 shown]
	v_mul_f32_e32 v98, 0x3f6eb680, v64
	v_mul_f32_e32 v104, 0x3f2c7751, v89
	v_fmamk_f32 v112, v92, 0xbf2c7751, v99
	v_add_f32_e32 v114, v41, v40
	v_fmamk_f32 v41, v53, 0xbe8c1d8e, v107
	v_add_f32_e32 v111, v113, v110
	v_add_f32_e32 v2, v0, v2
	;; [unrolled: 1-line block ×3, first 2 shown]
	v_mul_f32_e32 v102, 0xbeb8f4ab, v94
	v_fmamk_f32 v40, v95, 0x3eb8f4ab, v98
	v_add_f32_e32 v110, v112, v114
	v_fmamk_f32 v113, v56, 0x3f3d2fb0, v104
	v_add_f32_e32 v41, v41, v111
	v_mul_f32_e32 v118, 0x3dbcf732, v55
	v_add_f32_e32 v2, v2, v28
	v_add_f32_e32 v3, v3, v25
	v_mul_f32_e32 v123, 0xbf7ee86f, v70
	v_mul_f32_e32 v97, 0x3dbcf732, v65
	v_add_f32_e32 v40, v40, v110
	v_add_f32_e32 v29, v113, v41
	v_fmamk_f32 v28, v59, 0x3f6eb680, v102
	v_fmamk_f32 v41, v79, 0x3f7ee86f, v118
	v_mul_f32_e32 v116, 0xbf7ba420, v52
	v_add_f32_e32 v2, v2, v30
	v_mul_f32_e32 v115, 0xbf7ee86f, v93
	v_add_f32_e32 v110, v3, v27
	v_fmamk_f32 v3, v49, 0x3dbcf732, v123
	v_mul_f32_e32 v124, 0xbe3c28d5, v73
	v_fmamk_f32 v112, v96, 0x3f7ee86f, v97
	v_mul_f32_e32 v114, 0xbf59a7d5, v68
	v_add_f32_e32 v28, v28, v29
	v_add_f32_e32 v29, v1, v41
	v_fmamk_f32 v30, v80, 0x3e3c28d5, v116
	v_fmamk_f32 v31, v63, 0x3dbcf732, v115
	v_add_f32_e32 v2, v2, v24
	v_mul_f32_e32 v117, 0xbe8c1d8e, v54
	v_mul_f32_e32 v119, 0xbf06c442, v88
	v_add_f32_e32 v3, v0, v3
	v_fmamk_f32 v27, v50, 0xbf7ba420, v124
	v_mul_f32_e32 v126, 0x3f763a35, v74
	v_add_f32_e32 v40, v112, v40
	v_add_f32_e32 v24, v30, v29
	;; [unrolled: 1-line block ×3, first 2 shown]
	v_fmamk_f32 v2, v77, 0xbf763a35, v117
	v_mul_f32_e32 v121, 0x3f6eb680, v57
	v_fmamk_f32 v25, v91, 0x3f06c442, v114
	v_add_f32_e32 v26, v31, v28
	v_fmamk_f32 v28, v67, 0xbf59a7d5, v119
	v_add_f32_e32 v27, v27, v3
	v_fmamk_f32 v30, v51, 0xbe8c1d8e, v126
	v_mul_f32_e32 v128, 0x3eb8f4ab, v75
	v_add_f32_e32 v24, v2, v24
	v_fmamk_f32 v29, v90, 0xbeb8f4ab, v121
	v_mul_f32_e32 v127, 0x3ee437d1, v62
	v_add_f32_e32 v3, v25, v40
	v_add_f32_e32 v2, v28, v26
	;; [unrolled: 1-line block ×3, first 2 shown]
	v_fmamk_f32 v26, v53, 0x3f6eb680, v128
	v_mul_f32_e32 v129, 0xbf65296c, v89
	v_add_f32_e32 v24, v29, v24
	v_fmamk_f32 v27, v92, 0x3f65296c, v127
	v_mul_f32_e32 v130, 0xbf59a7d5, v64
	v_add_f32_e32 v25, v26, v25
	;; [unrolled: 3-line block ×20, first 2 shown]
	v_fmamk_f32 v29, v59, 0x3dbcf732, v146
	v_mul_f32_e32 v148, 0xbeb8f4ab, v93
	v_fmac_f32_e32 v135, 0xbf763a35, v79
	v_fma_f32 v136, 0xbe8c1d8e, v49, -v136
	v_add_f32_e32 v27, v28, v27
	v_fmamk_f32 v28, v96, 0x3eb8f4ab, v147
	v_mul_f32_e32 v133, 0xbf1a4643, v55
	v_add_f32_e32 v26, v29, v26
	v_fmamk_f32 v29, v63, 0x3f6eb680, v148
	v_mul_f32_e32 v149, 0xbf1a4643, v68
	v_add_f32_e32 v135, v1, v135
	v_fmac_f32_e32 v137, 0x3f06c442, v80
	v_add_f32_e32 v136, v0, v136
	v_fma_f32 v138, 0xbf59a7d5, v50, -v138
	v_add_f32_e32 v27, v28, v27
	v_fmamk_f32 v28, v79, 0x3f4c4adb, v133
	v_mul_f32_e32 v134, 0xbe8c1d8e, v52
	v_add_f32_e32 v26, v29, v26
	v_fmamk_f32 v29, v91, 0x3f4c4adb, v149
	v_mul_f32_e32 v150, 0xbf4c4adb, v70
	v_add_f32_e32 v135, v137, v135
	v_fmac_f32_e32 v139, 0x3f2c7751, v77
	v_add_f32_e32 v136, v138, v136
	v_fma_f32 v137, 0x3f3d2fb0, v51, -v140
	v_add_f32_e32 v28, v1, v28
	v_fmamk_f32 v30, v80, 0xbf763a35, v134
	v_mul_f32_e32 v151, 0x3f6eb680, v54
	v_add_f32_e32 v27, v29, v27
	v_fmamk_f32 v29, v49, 0xbf1a4643, v150
	v_mul_f32_e32 v152, 0x3f763a35, v73
	v_add_f32_e32 v135, v139, v135
	v_add_f32_e32 v137, v137, v136
	v_fma_f32 v139, 0x3ee437d1, v53, -v142
	v_add_f32_e32 v28, v30, v28
	v_fmamk_f32 v30, v77, 0x3eb8f4ab, v151
	v_mul_f32_e32 v153, 0xbf59a7d5, v57
	v_add_f32_e32 v29, v0, v29
	v_fmamk_f32 v31, v50, 0xbe8c1d8e, v152
	v_mul_f32_e32 v154, 0xbeb8f4ab, v74
	v_add_f32_e32 v137, v139, v137
	v_fma_f32 v139, 0xbf7ba420, v56, -v144
	v_fmac_f32_e32 v105, 0xbf65296c, v79
	v_add_f32_e32 v28, v30, v28
	v_fmamk_f32 v30, v90, 0x3f06c442, v153
	v_mul_f32_e32 v155, 0x3dbcf732, v62
	v_add_f32_e32 v29, v31, v29
	v_fmamk_f32 v31, v51, 0x3f6eb680, v154
	v_mul_f32_e32 v156, 0xbf06c442, v75
	v_add_f32_e32 v137, v139, v137
	v_fma_f32 v139, 0x3dbcf732, v59, -v146
	v_add_f32_e32 v105, v1, v105
	v_fmac_f32_e32 v103, 0xbf4c4adb, v80
	v_fma_f32 v109, 0x3ee437d1, v49, -v109
	v_mul_f32_e32 v157, 0xbf4c4adb, v88
	v_add_f32_e32 v28, v30, v28
	v_fmamk_f32 v30, v92, 0xbf7ee86f, v155
	v_add_f32_e32 v29, v31, v29
	v_fmamk_f32 v31, v53, 0xbf59a7d5, v156
	v_mul_f32_e32 v158, 0x3f7ee86f, v89
	v_mul_f32_e32 v159, 0x3f3d2fb0, v64
	v_add_f32_e32 v137, v139, v137
	v_add_f32_e32 v103, v103, v105
	v_fmac_f32_e32 v101, 0x3e3c28d5, v77
	v_fma_f32 v105, 0x3f6eb680, v63, -v148
	v_add_f32_e32 v109, v0, v109
	v_fma_f32 v108, 0xbf1a4643, v50, -v108
	v_fmamk_f32 v40, v67, 0xbf1a4643, v157
	v_add_f32_e32 v28, v30, v28
	v_add_f32_e32 v29, v31, v29
	v_fmamk_f32 v30, v56, 0x3dbcf732, v158
	v_mul_f32_e32 v160, 0xbf2c7751, v94
	v_fmamk_f32 v31, v95, 0x3f2c7751, v159
	v_mul_f32_e32 v161, 0xbf7ba420, v65
	v_mul_f32_e32 v131, 0xbf59a7d5, v55
	v_add_f32_e32 v101, v101, v103
	v_fmac_f32_e32 v100, 0x3f763a35, v90
	v_add_f32_e32 v103, v105, v137
	v_add_f32_e32 v105, v108, v109
	v_fma_f32 v106, 0xbf7ba420, v51, -v106
	v_add_f32_e32 v26, v40, v26
	v_add_f32_e32 v29, v30, v29
	v_fmamk_f32 v30, v59, 0x3f3d2fb0, v160
	v_add_f32_e32 v28, v31, v28
	v_mul_f32_e32 v162, 0xbe3c28d5, v93
	v_fmamk_f32 v31, v96, 0x3e3c28d5, v161
	v_mul_f32_e32 v163, 0x3ee437d1, v68
	v_fmamk_f32 v40, v79, 0x3f06c442, v131
	v_mul_f32_e32 v132, 0x3ee437d1, v52
	v_add_f32_e32 v101, v100, v101
	v_fmac_f32_e32 v99, 0x3f2c7751, v92
	v_add_f32_e32 v105, v106, v105
	v_fma_f32 v106, 0xbe8c1d8e, v53, -v107
	v_add_f32_e32 v29, v30, v29
	v_fmamk_f32 v30, v63, 0xbf7ba420, v162
	v_add_f32_e32 v28, v31, v28
	v_fmamk_f32 v31, v91, 0xbf65296c, v163
	;; [unrolled: 2-line block ×3, first 2 shown]
	v_mul_f32_e32 v164, 0x3dbcf732, v54
	v_mul_f32_e32 v166, 0xbf06c442, v70
	v_fma_f32 v108, 0xbf1a4643, v67, -v157
	v_add_f32_e32 v101, v99, v101
	v_fmac_f32_e32 v118, 0xbf7ee86f, v79
	v_fmac_f32_e32 v98, 0xbeb8f4ab, v95
	v_add_f32_e32 v105, v106, v105
	v_fma_f32 v104, 0x3f3d2fb0, v56, -v104
	v_add_f32_e32 v30, v30, v29
	v_add_f32_e32 v29, v31, v28
	;; [unrolled: 1-line block ×3, first 2 shown]
	v_fmamk_f32 v31, v77, 0x3f7ee86f, v164
	v_mul_f32_e32 v167, 0xbf1a4643, v57
	v_fmamk_f32 v41, v49, 0xbf59a7d5, v166
	v_mul_f32_e32 v168, 0x3f65296c, v73
	v_add_f32_e32 v99, v108, v103
	v_add_f32_e32 v103, v1, v118
	v_fmac_f32_e32 v116, 0xbe3c28d5, v80
	v_add_f32_e32 v98, v98, v101
	v_add_f32_e32 v101, v104, v105
	v_fma_f32 v104, 0x3dbcf732, v49, -v123
	v_mul_f32_e32 v165, 0x3f65296c, v88
	v_add_f32_e32 v28, v31, v28
	v_fmamk_f32 v31, v90, 0xbf4c4adb, v167
	v_mul_f32_e32 v169, 0x3f6eb680, v62
	v_add_f32_e32 v41, v0, v41
	v_fmamk_f32 v170, v50, 0x3ee437d1, v168
	v_mul_f32_e32 v171, 0xbf7ee86f, v74
	v_fma_f32 v102, 0x3f6eb680, v59, -v102
	v_add_f32_e32 v103, v116, v103
	v_fmac_f32_e32 v117, 0x3f763a35, v77
	v_add_f32_e32 v104, v0, v104
	v_fma_f32 v105, 0xbf7ba420, v50, -v124
	v_fmamk_f32 v40, v67, 0x3ee437d1, v165
	v_add_f32_e32 v28, v31, v28
	v_fmamk_f32 v31, v92, 0x3eb8f4ab, v169
	v_add_f32_e32 v41, v170, v41
	v_fmamk_f32 v170, v51, 0x3dbcf732, v171
	v_mul_f32_e32 v173, 0x3f4c4adb, v75
	v_fmac_f32_e32 v97, 0xbf7ee86f, v96
	v_add_f32_e32 v101, v102, v101
	v_add_f32_e32 v102, v117, v103
	v_fmac_f32_e32 v121, 0x3eb8f4ab, v90
	v_fma_f32 v103, 0x3dbcf732, v63, -v115
	v_add_f32_e32 v104, v105, v104
	v_fma_f32 v105, 0xbe8c1d8e, v51, -v126
	v_add_f32_e32 v31, v31, v28
	v_add_f32_e32 v28, v40, v30
	;; [unrolled: 1-line block ×3, first 2 shown]
	v_fmamk_f32 v40, v53, 0xbf1a4643, v173
	v_mul_f32_e32 v170, 0xbeb8f4ab, v89
	v_mul_f32_e32 v41, 0xbf7ba420, v55
	v_add_f32_e32 v97, v97, v98
	v_add_f32_e32 v98, v121, v102
	v_add_f32_e32 v101, v103, v101
	v_add_f32_e32 v102, v105, v104
	v_fma_f32 v103, 0x3f6eb680, v53, -v128
	v_add_f32_e32 v30, v40, v30
	v_fmamk_f32 v40, v56, 0x3f6eb680, v170
	v_mul_f32_e32 v175, 0xbe3c28d5, v94
	v_fmamk_f32 v176, v79, 0x3e3c28d5, v41
	v_mul_f32_e32 v177, 0x3f6eb680, v52
	v_fmac_f32_e32 v41, 0xbe3c28d5, v79
	v_fmac_f32_e32 v131, 0xbf06c442, v79
	;; [unrolled: 1-line block ×5, first 2 shown]
	v_fma_f32 v105, 0xbf59a7d5, v67, -v119
	v_add_f32_e32 v102, v103, v102
	v_fma_f32 v103, 0x3ee437d1, v56, -v129
	v_mul_f32_e32 v79, 0xbf2c7751, v79
	v_add_f32_e32 v30, v40, v30
	v_fmamk_f32 v40, v59, 0xbf7ba420, v175
	v_add_f32_e32 v176, v1, v176
	v_fmamk_f32 v179, v80, 0xbeb8f4ab, v177
	v_mul_f32_e32 v180, 0xbf59a7d5, v54
	v_fmac_f32_e32 v177, 0x3eb8f4ab, v80
	v_fmac_f32_e32 v132, 0x3f65296c, v80
	v_fmac_f32_e32 v134, 0x3f763a35, v80
	v_add_f32_e32 v104, v127, v98
	v_add_f32_e32 v98, v114, v97
	v_add_f32_e32 v102, v103, v102
	v_fma_f32 v103, 0xbf59a7d5, v59, -v125
	v_add_f32_e32 v97, v105, v101
	v_fmamk_f32 v101, v55, 0x3f3d2fb0, v79
	v_mul_f32_e32 v80, 0xbf7ee86f, v80
	v_mul_f32_e32 v172, 0xbf7ba420, v64
	v_add_f32_e32 v30, v40, v30
	v_add_f32_e32 v40, v179, v176
	v_fmamk_f32 v176, v77, 0x3f06c442, v180
	v_mul_f32_e32 v179, 0x3f3d2fb0, v57
	v_fmac_f32_e32 v180, 0xbf06c442, v77
	v_fmac_f32_e32 v164, 0xbf7ee86f, v77
	;; [unrolled: 1-line block ×3, first 2 shown]
	v_add_f32_e32 v102, v103, v102
	v_add_f32_e32 v101, v1, v101
	v_fmamk_f32 v103, v52, 0x3dbcf732, v80
	v_mul_f32_e32 v77, 0xbf4c4adb, v77
	v_fmamk_f32 v174, v95, 0x3e3c28d5, v172
	v_mul_f32_e32 v181, 0xbe3c28d5, v70
	v_add_f32_e32 v40, v176, v40
	v_fmamk_f32 v186, v90, 0xbf2c7751, v179
	v_mul_f32_e32 v187, 0xbf1a4643, v62
	v_fmac_f32_e32 v179, 0x3f2c7751, v90
	v_fmac_f32_e32 v167, 0x3f4c4adb, v90
	v_fmac_f32_e32 v153, 0xbf06c442, v90
	v_fmac_f32_e32 v141, 0xbf65296c, v90
	v_mul_f32_e32 v70, 0xbf2c7751, v70
	v_add_f32_e32 v101, v103, v101
	v_fmamk_f32 v103, v54, 0xbf1a4643, v77
	v_mul_f32_e32 v90, 0xbe3c28d5, v90
	v_add_f32_e32 v31, v174, v31
	v_mul_f32_e32 v174, 0x3f3d2fb0, v65
	v_mul_f32_e32 v185, 0x3eb8f4ab, v73
	v_add_f32_e32 v40, v186, v40
	v_fmamk_f32 v191, v92, 0x3f4c4adb, v187
	v_mul_f32_e32 v192, 0x3ee437d1, v64
	v_fmac_f32_e32 v187, 0xbf4c4adb, v92
	v_fmac_f32_e32 v169, 0xbeb8f4ab, v92
	;; [unrolled: 1-line block ×4, first 2 shown]
	v_fma_f32 v106, 0x3f3d2fb0, v49, -v70
	v_mul_f32_e32 v73, 0xbf7ee86f, v73
	v_add_f32_e32 v101, v103, v101
	v_fmamk_f32 v103, v57, 0xbf7ba420, v90
	v_mul_f32_e32 v92, 0x3f06c442, v92
	v_fmamk_f32 v178, v96, 0xbf2c7751, v174
	v_mul_f32_e32 v183, 0xbe8c1d8e, v68
	v_mul_f32_e32 v188, 0xbf06c442, v74
	v_add_f32_e32 v40, v191, v40
	v_fmamk_f32 v191, v95, 0xbf65296c, v192
	v_fmac_f32_e32 v192, 0x3f65296c, v95
	v_fmac_f32_e32 v172, 0xbe3c28d5, v95
	;; [unrolled: 1-line block ×5, first 2 shown]
	v_add_f32_e32 v106, v0, v106
	v_fma_f32 v107, 0x3dbcf732, v50, -v73
	v_mul_f32_e32 v74, 0xbf4c4adb, v74
	v_add_f32_e32 v101, v103, v101
	v_fmamk_f32 v103, v62, 0xbf59a7d5, v92
	v_mul_f32_e32 v95, 0x3f763a35, v95
	v_add_f32_e32 v31, v178, v31
	v_fmamk_f32 v189, v91, 0x3f763a35, v183
	v_mul_f32_e32 v186, 0x3f2c7751, v75
	v_add_f32_e32 v106, v107, v106
	v_fma_f32 v107, 0xbf1a4643, v51, -v74
	v_mul_f32_e32 v75, 0xbe3c28d5, v75
	v_add_f32_e32 v101, v103, v101
	v_fmamk_f32 v103, v64, 0xbe8c1d8e, v95
	v_add_f32_e32 v31, v189, v31
	v_mul_f32_e32 v189, 0xbf4c4adb, v89
	v_add_f32_e32 v106, v107, v106
	v_fma_f32 v107, 0xbf7ba420, v53, -v75
	v_mul_f32_e32 v89, 0x3f06c442, v89
	v_add_f32_e32 v101, v103, v101
	v_mul_f32_e32 v103, 0x3f6eb680, v55
	v_mul_f32_e32 v194, 0x3f65296c, v94
	v_fma_f32 v105, 0xbf1a4643, v63, -v120
	v_add_f32_e32 v106, v107, v106
	v_fma_f32 v107, 0xbf59a7d5, v56, -v89
	v_mul_f32_e32 v94, 0x3f763a35, v94
	v_mul_f32_e32 v109, 0x3f3d2fb0, v52
	v_add_f32_e32 v60, v60, v103
	v_mul_f32_e32 v178, 0x3f2c7751, v93
	v_add_f32_e32 v40, v191, v40
	;; [unrolled: 2-line block ×3, first 2 shown]
	v_fma_f32 v107, 0xbe8c1d8e, v59, -v94
	v_add_f32_e32 v102, v105, v102
	v_add_f32_e32 v69, v69, v109
	v_add_f32_e32 v60, v1, v60
	v_mul_f32_e32 v105, 0x3f6eb680, v49
	v_mul_f32_e32 v93, 0x3f65296c, v93
	v_add_f32_e32 v103, v107, v106
	v_mul_f32_e32 v106, 0x3ee437d1, v54
	v_mul_f32_e32 v107, 0x3f3d2fb0, v50
	v_add_f32_e32 v60, v69, v60
	v_sub_f32_e32 v58, v105, v58
	v_fma_f32 v69, 0x3ee437d1, v63, -v93
	v_add_f32_e32 v76, v76, v106
	v_sub_f32_e32 v66, v107, v66
	v_mul_f32_e32 v105, 0x3dbcf732, v57
	v_add_f32_e32 v58, v0, v58
	v_add_f32_e32 v69, v69, v103
	v_mul_f32_e32 v103, 0x3ee437d1, v51
	v_fmamk_f32 v182, v63, 0x3f3d2fb0, v178
	v_fmamk_f32 v176, v49, 0xbf7ba420, v181
	v_add_f32_e32 v60, v76, v60
	v_add_f32_e32 v76, v78, v105
	;; [unrolled: 1-line block ×3, first 2 shown]
	v_mul_f32_e32 v66, 0xbe8c1d8e, v62
	v_sub_f32_e32 v61, v103, v61
	v_mul_f32_e32 v78, 0x3dbcf732, v53
	v_add_f32_e32 v133, v1, v133
	v_add_f32_e32 v30, v182, v30
	v_add_f32_e32 v176, v0, v176
	v_fmamk_f32 v182, v50, 0x3f6eb680, v185
	v_add_f32_e32 v60, v76, v60
	v_mul_f32_e32 v76, 0xbe8c1d8e, v56
	v_add_f32_e32 v66, v85, v66
	v_add_f32_e32 v58, v61, v58
	v_mul_f32_e32 v61, 0xbf1a4643, v64
	v_sub_f32_e32 v71, v78, v71
	v_add_f32_e32 v133, v134, v133
	v_fma_f32 v150, 0xbf1a4643, v49, -v150
	v_add_f32_e32 v176, v182, v176
	v_fmamk_f32 v182, v51, 0xbf59a7d5, v188
	v_mul_f32_e32 v85, 0xbf1a4643, v59
	v_add_f32_e32 v66, v66, v60
	v_mul_f32_e32 v103, 0xbf59a7d5, v65
	v_add_f32_e32 v61, v86, v61
	v_add_f32_e32 v71, v71, v58
	v_sub_f32_e32 v72, v76, v72
	v_add_f32_e32 v17, v110, v17
	v_add_f32_e32 v16, v111, v16
	v_add_f32_e32 v133, v151, v133
	v_add_f32_e32 v150, v0, v150
	v_fma_f32 v151, 0xbe8c1d8e, v50, -v152
	v_add_f32_e32 v131, v1, v131
	v_add_f32_e32 v176, v182, v176
	v_fmamk_f32 v182, v53, 0x3f3d2fb0, v186
	v_mul_f32_e32 v78, 0xbf59a7d5, v63
	v_mul_f32_e32 v76, 0xbf7ba420, v68
	v_add_f32_e32 v71, v72, v71
	v_sub_f32_e32 v81, v85, v81
	v_add_f32_e32 v61, v61, v66
	v_add_f32_e32 v66, v83, v103
	;; [unrolled: 1-line block ×5, first 2 shown]
	v_fma_f32 v151, 0x3f6eb680, v51, -v154
	v_add_f32_e32 v131, v132, v131
	v_fma_f32 v166, 0xbf59a7d5, v49, -v166
	v_add_f32_e32 v176, v182, v176
	v_fmamk_f32 v182, v56, 0xbf1a4643, v189
	v_mul_f32_e32 v86, 0xbf7ba420, v67
	v_add_f32_e32 v71, v81, v71
	v_sub_f32_e32 v18, v78, v82
	v_add_f32_e32 v19, v66, v61
	v_add_f32_e32 v61, v87, v76
	;; [unrolled: 1-line block ×5, first 2 shown]
	v_fma_f32 v151, 0xbf59a7d5, v53, -v156
	v_add_f32_e32 v131, v164, v131
	v_add_f32_e32 v164, v0, v166
	v_fma_f32 v166, 0x3ee437d1, v50, -v168
	v_mul_f32_e32 v184, 0xbf763a35, v88
	v_add_f32_e32 v176, v182, v176
	v_fmamk_f32 v182, v59, 0x3ee437d1, v194
	v_fma_f32 v181, 0xbf7ba420, v49, -v181
	v_add_f32_e32 v18, v18, v71
	v_sub_f32_e32 v20, v86, v84
	v_add_f32_e32 v17, v61, v19
	v_add_f32_e32 v19, v21, v23
	;; [unrolled: 1-line block ×3, first 2 shown]
	v_fma_f32 v22, 0x3f3d2fb0, v55, -v79
	v_fmac_f32_e32 v70, 0x3f3d2fb0, v49
	v_add_f32_e32 v150, v151, v150
	v_fma_f32 v151, 0x3dbcf732, v56, -v158
	v_add_f32_e32 v164, v166, v164
	v_fma_f32 v166, 0x3dbcf732, v51, -v171
	v_fmamk_f32 v190, v67, 0xbe8c1d8e, v184
	v_mul_f32_e32 v193, 0xbe8c1d8e, v65
	v_add_f32_e32 v176, v182, v176
	v_fmamk_f32 v182, v63, 0xbe8c1d8e, v191
	v_add_f32_e32 v41, v1, v41
	v_add_f32_e32 v181, v0, v181
	v_fma_f32 v185, 0x3f6eb680, v50, -v185
	v_add_f32_e32 v16, v20, v18
	v_add_f32_e32 v13, v19, v13
	;; [unrolled: 1-line block ×4, first 2 shown]
	v_fma_f32 v18, 0x3dbcf732, v52, -v80
	v_add_f32_e32 v0, v0, v70
	v_fmac_f32_e32 v73, 0x3dbcf732, v50
	v_add_f32_e32 v150, v151, v150
	v_fma_f32 v151, 0x3f3d2fb0, v59, -v160
	v_add_f32_e32 v164, v166, v164
	v_fma_f32 v166, 0xbf1a4643, v53, -v173
	v_add_f32_e32 v30, v190, v30
	v_fmamk_f32 v190, v96, 0x3f763a35, v193
	v_add_f32_e32 v176, v182, v176
	v_mul_f32_e32 v182, 0x3dbcf732, v68
	v_add_f32_e32 v41, v177, v41
	v_add_f32_e32 v177, v185, v181
	v_fma_f32 v181, 0xbf59a7d5, v51, -v188
	v_add_f32_e32 v13, v13, v15
	v_add_f32_e32 v12, v12, v14
	;; [unrolled: 1-line block ×3, first 2 shown]
	v_fma_f32 v14, 0xbf1a4643, v54, -v77
	v_add_f32_e32 v0, v73, v0
	v_fmac_f32_e32 v74, 0xbf1a4643, v51
	v_add_f32_e32 v150, v151, v150
	v_fma_f32 v151, 0xbf7ba420, v63, -v162
	v_add_f32_e32 v164, v166, v164
	v_fma_f32 v166, 0x3f6eb680, v56, -v170
	v_add_f32_e32 v40, v190, v40
	v_fmamk_f32 v185, v91, 0xbf7ee86f, v182
	v_mul_f32_e32 v188, 0x3f7ee86f, v88
	v_add_f32_e32 v180, v180, v41
	v_add_f32_e32 v177, v181, v177
	v_fma_f32 v181, 0x3f3d2fb0, v53, -v186
	v_add_f32_e32 v9, v13, v9
	v_add_f32_e32 v8, v12, v8
	;; [unrolled: 1-line block ×3, first 2 shown]
	v_fma_f32 v12, 0xbf7ba420, v57, -v90
	v_add_f32_e32 v0, v74, v0
	v_fmac_f32_e32 v75, 0xbf7ba420, v53
	v_add_f32_e32 v138, v151, v150
	v_fma_f32 v140, 0x3ee437d1, v67, -v165
	v_add_f32_e32 v141, v141, v135
	v_add_f32_e32 v167, v167, v131
	;; [unrolled: 1-line block ×3, first 2 shown]
	v_fma_f32 v166, 0xbf7ba420, v59, -v175
	v_add_f32_e32 v133, v153, v133
	v_add_f32_e32 v41, v185, v40
	v_fmamk_f32 v40, v67, 0x3dbcf732, v188
	v_add_f32_e32 v179, v179, v180
	v_add_f32_e32 v177, v181, v177
	v_fma_f32 v180, 0xbf1a4643, v56, -v189
	v_add_f32_e32 v9, v9, v11
	v_add_f32_e32 v8, v8, v10
	;; [unrolled: 1-line block ×3, first 2 shown]
	v_fma_f32 v10, 0xbf59a7d5, v62, -v92
	v_add_f32_e32 v0, v75, v0
	v_fmac_f32_e32 v89, 0xbf59a7d5, v56
	v_fmac_f32_e32 v193, 0xbf763a35, v96
	v_fmac_f32_e32 v174, 0x3f2c7751, v96
	v_fmac_f32_e32 v161, 0xbe3c28d5, v96
	v_fmac_f32_e32 v147, 0xbeb8f4ab, v96
	v_fmac_f32_e32 v122, 0x3f4c4adb, v96
	v_mul_f32_e32 v96, 0x3f65296c, v96
	v_add_f32_e32 v135, v140, v138
	v_add_f32_e32 v138, v143, v141
	;; [unrolled: 1-line block ×5, first 2 shown]
	v_fma_f32 v164, 0x3f3d2fb0, v63, -v178
	v_add_f32_e32 v133, v155, v133
	v_add_f32_e32 v40, v40, v176
	;; [unrolled: 1-line block ×4, first 2 shown]
	v_fma_f32 v179, 0x3ee437d1, v59, -v194
	v_add_f32_e32 v5, v9, v5
	v_add_f32_e32 v4, v8, v4
	;; [unrolled: 1-line block ×3, first 2 shown]
	v_fma_f32 v8, 0xbe8c1d8e, v64, -v95
	v_add_f32_e32 v0, v89, v0
	v_fmac_f32_e32 v94, 0xbe8c1d8e, v59
	v_fmac_f32_e32 v182, 0x3f7ee86f, v91
	;; [unrolled: 1-line block ×5, first 2 shown]
	v_fmamk_f32 v108, v65, 0x3ee437d1, v96
	v_fmac_f32_e32 v112, 0x3f2c7751, v91
	v_mul_f32_e32 v91, 0x3eb8f4ab, v91
	v_mul_f32_e32 v88, 0x3eb8f4ab, v88
	v_add_f32_e32 v138, v145, v138
	v_add_f32_e32 v104, v122, v104
	;; [unrolled: 1-line block ×4, first 2 shown]
	v_fma_f32 v153, 0xbe8c1d8e, v67, -v184
	v_add_f32_e32 v154, v159, v133
	v_add_f32_e32 v176, v192, v176
	;; [unrolled: 1-line block ×3, first 2 shown]
	v_fma_f32 v179, 0xbe8c1d8e, v63, -v191
	v_add_f32_e32 v5, v5, v7
	v_add_f32_e32 v4, v4, v6
	;; [unrolled: 1-line block ×3, first 2 shown]
	v_fma_f32 v7, 0x3ee437d1, v65, -v96
	v_add_f32_e32 v8, v94, v0
	v_fmac_f32_e32 v93, 0x3ee437d1, v63
	v_add_f32_e32 v101, v108, v101
	v_fmamk_f32 v60, v68, 0x3f6eb680, v91
	v_fma_f32 v72, 0x3f6eb680, v67, -v88
	v_add_f32_e32 v138, v147, v138
	v_add_f32_e32 v58, v112, v104
	v_fma_f32 v104, 0x3f3d2fb0, v67, -v113
	v_add_f32_e32 v134, v174, v167
	v_add_f32_e32 v133, v153, v152
	;; [unrolled: 1-line block ×5, first 2 shown]
	v_fma_f32 v168, 0x3dbcf732, v67, -v188
	v_add_f32_e32 v1, v5, v39
	v_add_f32_e32 v0, v4, v38
	;; [unrolled: 1-line block ×3, first 2 shown]
	v_fma_f32 v5, 0x3f6eb680, v68, -v91
	v_add_f32_e32 v6, v93, v8
	v_fmac_f32_e32 v88, 0x3f6eb680, v67
	v_lshl_add_u32 v7, v32, 7, v42
	v_add_f32_e32 v60, v60, v101
	v_add_f32_e32 v59, v72, v69
	;; [unrolled: 1-line block ×10, first 2 shown]
	ds_write2_b64 v7, v[0:1], v[16:17] offset1:1
	ds_write2_b64 v7, v[59:60], v[97:98] offset0:2 offset1:3
	ds_write2_b64 v7, v[57:58], v[99:100] offset0:4 offset1:5
	;; [unrolled: 1-line block ×7, first 2 shown]
	ds_write_b64 v7, v[36:37] offset:128
.LBB0_13:
	s_or_b32 exec_lo, exec_lo, s1
	v_and_b32_e32 v0, 0xff, v32
	v_add_nc_u32_e32 v40, 0x1fe, v32
	v_add_nc_u32_e32 v50, 0x198, v32
	v_add_nc_u16 v49, v32, 0x66
	v_add_nc_u32_e32 v73, 0x264, v32
	v_mul_lo_u16 v71, 0xf1, v0
	v_mov_b32_e32 v0, 0xf0f1
	v_add_nc_u32_e32 v75, 0x2ca, v32
	v_and_b32_e32 v51, 0xff, v49
	v_add_nc_u32_e32 v53, 0xcc, v32
	v_lshrrev_b16 v72, 12, v71
	v_mul_u32_u24_sdwa v77, v40, v0 dst_sel:DWORD dst_unused:UNUSED_PAD src0_sel:WORD_0 src1_sel:DWORD
	v_mul_u32_u24_sdwa v54, v50, v0 dst_sel:DWORD dst_unused:UNUSED_PAD src0_sel:WORD_0 src1_sel:DWORD
	v_add_nc_u32_e32 v52, 0x132, v32
	v_mul_u32_u24_sdwa v80, v73, v0 dst_sel:DWORD dst_unused:UNUSED_PAD src0_sel:WORD_0 src1_sel:DWORD
	v_mul_u32_u24_sdwa v82, v75, v0 dst_sel:DWORD dst_unused:UNUSED_PAD src0_sel:WORD_0 src1_sel:DWORD
	v_lshrrev_b32_e32 v83, 20, v77
	v_lshrrev_b32_e32 v81, 20, v54
	v_mul_lo_u16 v74, 0xf1, v51
	v_mul_lo_u16 v1, v72, 17
	v_mul_u32_u24_sdwa v55, v53, v0 dst_sel:DWORD dst_unused:UNUSED_PAD src0_sel:WORD_0 src1_sel:DWORD
	v_lshrrev_b32_e32 v84, 20, v80
	v_mul_lo_u16 v4, v83, 17
	v_mul_u32_u24_sdwa v56, v52, v0 dst_sel:DWORD dst_unused:UNUSED_PAD src0_sel:WORD_0 src1_sel:DWORD
	v_mul_lo_u16 v3, v81, 17
	v_lshrrev_b32_e32 v85, 20, v82
	v_lshrrev_b16 v76, 12, v74
	v_mov_b32_e32 v41, 3
	v_sub_nc_u16 v1, v32, v1
	v_lshrrev_b32_e32 v78, 20, v55
	v_mul_lo_u16 v0, v84, 17
	v_sub_nc_u16 v4, v40, v4
	v_lshrrev_b32_e32 v86, 20, v56
	v_sub_nc_u16 v3, v50, v3
	v_mul_lo_u16 v5, v85, 17
	v_mul_lo_u16 v2, v76, 17
	v_lshlrev_b32_sdwa v79, v41, v1 dst_sel:DWORD dst_unused:UNUSED_PAD src0_sel:DWORD src1_sel:BYTE_0
	v_mul_lo_u16 v1, v78, 17
	v_sub_nc_u16 v0, v73, v0
	v_lshlrev_b32_sdwa v88, v41, v4 dst_sel:DWORD dst_unused:UNUSED_PAD src0_sel:DWORD src1_sel:WORD_0
	v_mul_lo_u16 v4, v86, 17
	v_lshlrev_b32_sdwa v87, v41, v3 dst_sel:DWORD dst_unused:UNUSED_PAD src0_sel:DWORD src1_sel:WORD_0
	v_sub_nc_u16 v3, v75, v5
	v_sub_nc_u16 v2, v49, v2
	;; [unrolled: 1-line block ×3, first 2 shown]
	v_lshlrev_b32_sdwa v89, v41, v0 dst_sel:DWORD dst_unused:UNUSED_PAD src0_sel:DWORD src1_sel:WORD_0
	v_sub_nc_u16 v0, v52, v4
	s_waitcnt lgkmcnt(0)
	s_barrier
	buffer_gl0_inv
	s_clause 0x3
	global_load_dwordx2 v[38:39], v79, s[8:9]
	global_load_dwordx2 v[57:58], v87, s[8:9]
	;; [unrolled: 1-line block ×4, first 2 shown]
	v_lshlrev_b32_sdwa v90, v41, v3 dst_sel:DWORD dst_unused:UNUSED_PAD src0_sel:DWORD src1_sel:WORD_0
	v_lshlrev_b32_sdwa v91, v41, v2 dst_sel:DWORD dst_unused:UNUSED_PAD src0_sel:DWORD src1_sel:BYTE_0
	v_lshlrev_b32_sdwa v92, v41, v1 dst_sel:DWORD dst_unused:UNUSED_PAD src0_sel:DWORD src1_sel:WORD_0
	v_lshlrev_b32_sdwa v93, v41, v0 dst_sel:DWORD dst_unused:UNUSED_PAD src0_sel:DWORD src1_sel:WORD_0
	v_add_nc_u32_e32 v94, 0x2400, v42
	s_clause 0x3
	global_load_dwordx2 v[63:64], v90, s[8:9]
	global_load_dwordx2 v[65:66], v91, s[8:9]
	;; [unrolled: 1-line block ×4, first 2 shown]
	ds_read2_b64 v[0:3], v42 offset1:102
	ds_read2_b64 v[4:7], v47 offset0:48 offset1:150
	ds_read2_b64 v[8:11], v43 offset0:76 offset1:178
	;; [unrolled: 1-line block ×7, first 2 shown]
	v_mov_b32_e32 v95, 0x110
	v_mul_u32_u24_e32 v81, 0x110, v81
	v_mul_u32_u24_e32 v85, 0x110, v85
	;; [unrolled: 1-line block ×4, first 2 shown]
	v_mul_u32_u24_sdwa v76, v76, v95 dst_sel:DWORD dst_unused:UNUSED_PAD src0_sel:WORD_0 src1_sel:DWORD
	v_add3_u32 v81, 0, v81, v87
	v_lshrrev_b16 v71, 13, v71
	v_add3_u32 v85, 0, v85, v90
	v_add3_u32 v83, 0, v83, v88
	;; [unrolled: 1-line block ×4, first 2 shown]
	v_mul_lo_u16 v99, v71, 34
	v_lshrrev_b16 v74, 13, v74
	v_lshrrev_b32_e32 v96, 21, v55
	v_lshrrev_b32_e32 v97, 21, v56
	;; [unrolled: 1-line block ×5, first 2 shown]
	v_mul_u32_u24_sdwa v72, v72, v95 dst_sel:DWORD dst_unused:UNUSED_PAD src0_sel:WORD_0 src1_sel:DWORD
	v_sub_nc_u16 v95, v32, v99
	v_mul_lo_u16 v99, v74, 34
	v_lshrrev_b32_e32 v82, 21, v82
	v_mul_lo_u16 v100, v96, 34
	v_mul_lo_u16 v101, v97, 34
	;; [unrolled: 1-line block ×3, first 2 shown]
	v_mul_u32_u24_e32 v78, 0x110, v78
	v_mul_lo_u16 v103, v77, 34
	v_mul_u32_u24_e32 v86, 0x110, v86
	v_mul_lo_u16 v104, v80, 34
	v_sub_nc_u16 v99, v49, v99
	v_mul_lo_u16 v105, v82, 34
	v_sub_nc_u16 v100, v53, v100
	v_sub_nc_u16 v101, v52, v101
	v_add3_u32 v72, 0, v72, v79
	v_sub_nc_u16 v102, v50, v102
	v_sub_nc_u16 v103, v40, v103
	v_lshlrev_b32_sdwa v95, v41, v95 dst_sel:DWORD dst_unused:UNUSED_PAD src0_sel:DWORD src1_sel:BYTE_0
	v_add3_u32 v78, 0, v78, v92
	v_sub_nc_u16 v73, v73, v104
	v_add3_u32 v79, 0, v86, v93
	v_lshlrev_b32_sdwa v86, v41, v99 dst_sel:DWORD dst_unused:UNUSED_PAD src0_sel:DWORD src1_sel:BYTE_0
	v_sub_nc_u16 v75, v75, v105
	v_lshlrev_b32_sdwa v100, v41, v100 dst_sel:DWORD dst_unused:UNUSED_PAD src0_sel:DWORD src1_sel:WORD_0
	s_waitcnt vmcnt(0) lgkmcnt(0)
	s_barrier
	buffer_gl0_inv
	v_cmp_gt_u32_e64 s0, 34, v32
	v_mul_f32_e32 v87, v39, v5
	v_mul_f32_e32 v39, v39, v4
	;; [unrolled: 1-line block ×5, first 2 shown]
	v_fma_f32 v4, v38, v4, -v87
	v_fmac_f32_e32 v39, v38, v5
	v_mul_f32_e32 v58, v28, v58
	v_mul_f32_e32 v5, v66, v7
	;; [unrolled: 1-line block ×11, first 2 shown]
	v_fmac_f32_e32 v62, v25, v61
	v_fma_f32 v25, v26, v63, -v91
	v_fma_f32 v26, v65, v6, -v5
	v_fmac_f32_e32 v38, v65, v7
	v_fma_f32 v28, v28, v57, -v88
	v_fmac_f32_e32 v58, v29, v57
	v_fma_f32 v29, v30, v59, -v89
	v_fma_f32 v30, v67, v12, -v66
	v_fmac_f32_e32 v68, v67, v13
	v_fmac_f32_e32 v60, v31, v59
	v_fma_f32 v31, v69, v14, -v87
	v_fmac_f32_e32 v70, v69, v15
	v_fma_f32 v24, v24, v61, -v90
	v_fmac_f32_e32 v64, v27, v63
	v_sub_f32_e32 v4, v0, v4
	v_sub_f32_e32 v5, v1, v39
	;; [unrolled: 1-line block ×16, first 2 shown]
	v_fma_f32 v0, v0, 2.0, -v4
	v_fma_f32 v1, v1, 2.0, -v5
	;; [unrolled: 1-line block ×16, first 2 shown]
	ds_write2_b64 v72, v[0:1], v[4:5] offset1:17
	ds_write2_b64 v76, v[2:3], v[26:27] offset1:17
	;; [unrolled: 1-line block ×8, first 2 shown]
	v_lshlrev_b32_sdwa v8, v41, v101 dst_sel:DWORD dst_unused:UNUSED_PAD src0_sel:DWORD src1_sel:WORD_0
	v_lshlrev_b32_sdwa v9, v41, v102 dst_sel:DWORD dst_unused:UNUSED_PAD src0_sel:DWORD src1_sel:WORD_0
	s_waitcnt lgkmcnt(0)
	s_barrier
	buffer_gl0_inv
	s_clause 0x2
	global_load_dwordx2 v[28:29], v95, s[8:9] offset:136
	global_load_dwordx2 v[30:31], v86, s[8:9] offset:136
	;; [unrolled: 1-line block ×3, first 2 shown]
	v_lshlrev_b32_sdwa v10, v41, v103 dst_sel:DWORD dst_unused:UNUSED_PAD src0_sel:DWORD src1_sel:WORD_0
	v_lshlrev_b32_sdwa v12, v41, v73 dst_sel:DWORD dst_unused:UNUSED_PAD src0_sel:DWORD src1_sel:WORD_0
	global_load_dwordx2 v[38:39], v100, s[8:9] offset:136
	v_lshlrev_b32_sdwa v13, v41, v75 dst_sel:DWORD dst_unused:UNUSED_PAD src0_sel:DWORD src1_sel:WORD_0
	s_clause 0x3
	global_load_dwordx2 v[61:62], v8, s[8:9] offset:136
	global_load_dwordx2 v[65:66], v10, s[8:9] offset:136
	;; [unrolled: 1-line block ×4, first 2 shown]
	v_mov_b32_e32 v4, 0x220
	v_mul_u32_u24_e32 v6, 0x220, v96
	v_mul_u32_u24_e32 v11, 0x220, v97
	;; [unrolled: 1-line block ×4, first 2 shown]
	v_mul_u32_u24_sdwa v5, v71, v4 dst_sel:DWORD dst_unused:UNUSED_PAD src0_sel:WORD_0 src1_sel:DWORD
	ds_read2_b64 v[0:3], v47 offset0:48 offset1:150
	v_mul_u32_u24_sdwa v18, v74, v4 dst_sel:DWORD dst_unused:UNUSED_PAD src0_sel:WORD_0 src1_sel:DWORD
	v_add3_u32 v73, 0, v6, v100
	v_mul_u32_u24_e32 v16, 0x220, v80
	v_add3_u32 v71, 0, v5, v95
	ds_read2_b64 v[4:7], v48 offset0:124 offset1:226
	v_mul_u32_u24_e32 v17, 0x220, v82
	v_add3_u32 v48, 0, v11, v8
	v_add3_u32 v74, 0, v14, v9
	;; [unrolled: 1-line block ×3, first 2 shown]
	ds_read2_b64 v[8:11], v94 offset0:72 offset1:174
	v_add3_u32 v76, 0, v16, v12
	v_add3_u32 v77, 0, v17, v13
	;; [unrolled: 1-line block ×3, first 2 shown]
	ds_read2_b64 v[12:15], v33 offset0:148 offset1:250
	ds_read2_b64 v[16:19], v42 offset1:102
	ds_read2_b64 v[20:23], v43 offset0:76 offset1:178
	ds_read2_b64 v[24:27], v46 offset0:152 offset1:254
	;; [unrolled: 1-line block ×3, first 2 shown]
	v_add_nc_u32_e32 v72, 0xc00, v42
	s_waitcnt vmcnt(0) lgkmcnt(0)
	s_barrier
	buffer_gl0_inv
	v_mul_f32_e32 v46, v29, v1
	v_mul_f32_e32 v29, v29, v0
	;; [unrolled: 1-line block ×16, first 2 shown]
	v_fma_f32 v0, v28, v0, -v46
	v_fmac_f32_e32 v29, v28, v1
	v_fma_f32 v2, v30, v2, -v79
	v_fmac_f32_e32 v31, v30, v3
	;; [unrolled: 2-line block ×8, first 2 shown]
	v_sub_f32_e32 v0, v16, v0
	v_sub_f32_e32 v1, v17, v29
	;; [unrolled: 1-line block ×16, first 2 shown]
	v_fma_f32 v14, v16, 2.0, -v0
	v_fma_f32 v15, v17, 2.0, -v1
	;; [unrolled: 1-line block ×16, first 2 shown]
	ds_write2_b64 v71, v[14:15], v[0:1] offset1:34
	ds_write2_b64 v78, v[16:17], v[2:3] offset1:34
	ds_write2_b64 v73, v[18:19], v[4:5] offset1:34
	ds_write2_b64 v48, v[20:21], v[6:7] offset1:34
	ds_write2_b64 v74, v[22:23], v[8:9] offset1:34
	ds_write2_b64 v75, v[24:25], v[10:11] offset1:34
	ds_write2_b64 v76, v[26:27], v[12:13] offset1:34
	ds_write2_b64 v77, v[30:31], v[28:29] offset1:34
	s_waitcnt lgkmcnt(0)
	s_barrier
	buffer_gl0_inv
	ds_read2_b64 v[4:7], v42 offset1:102
	ds_read2_b64 v[0:3], v72 offset0:24 offset1:160
	ds_read2_b64 v[12:15], v44 offset0:64 offset1:166
	;; [unrolled: 1-line block ×6, first 2 shown]
	ds_read_b64 v[38:39], v42 offset:11968
                                        ; implicit-def: $vgpr31
	s_and_saveexec_b32 s1, s0
	s_cbranch_execz .LBB0_15
; %bb.14:
	ds_read_b64 v[28:29], v42 offset:4080
	ds_read_b64 v[36:37], v42 offset:8432
	;; [unrolled: 1-line block ×3, first 2 shown]
.LBB0_15:
	s_or_b32 exec_lo, exec_lo, s1
	v_lshrrev_b32_e32 v33, 22, v55
	v_add_nc_u32_e32 v47, 0xffffffbc, v32
	v_cmp_gt_u32_e64 s1, 0x44, v32
	v_lshrrev_b32_e32 v66, 22, v56
	v_lshrrev_b32_e32 v67, 22, v54
	v_mul_lo_u16 v43, 0x44, v33
	v_mul_lo_u16 v54, 0x79, v51
	v_cndmask_b32_e64 v71, v47, v32, s1
	v_mul_lo_u16 v44, 0x44, v66
	v_mov_b32_e32 v48, 0
	v_sub_nc_u16 v68, v53, v43
	v_mul_lo_u16 v43, 0x44, v67
	v_lshrrev_b16 v72, 13, v54
	v_lshlrev_b32_e32 v47, 1, v71
	v_mov_b32_e32 v58, 4
	v_sub_nc_u16 v69, v52, v44
	v_sub_nc_u16 v70, v50, v43
	v_mul_lo_u16 v59, 0x44, v72
	v_lshlrev_b64 v[47:48], 3, v[47:48]
	v_lshlrev_b32_sdwa v44, v58, v68 dst_sel:DWORD dst_unused:UNUSED_PAD src0_sel:DWORD src1_sel:WORD_0
	v_lshlrev_b32_sdwa v50, v58, v69 dst_sel:DWORD dst_unused:UNUSED_PAD src0_sel:DWORD src1_sel:WORD_0
	;; [unrolled: 1-line block ×3, first 2 shown]
	v_sub_nc_u16 v49, v49, v59
	v_mul_u32_u24_e32 v33, 0x660, v33
	v_add_co_u32 v47, s1, s8, v47
	s_clause 0x2
	global_load_dwordx4 v[43:46], v44, s[8:9] offset:408
	global_load_dwordx4 v[50:53], v50, s[8:9] offset:408
	;; [unrolled: 1-line block ×3, first 2 shown]
	v_add_co_ci_u32_e64 v48, s1, s9, v48, s1
	v_lshlrev_b32_sdwa v62, v58, v49 dst_sel:DWORD dst_unused:UNUSED_PAD src0_sel:DWORD src1_sel:BYTE_0
	s_clause 0x1
	global_load_dwordx4 v[58:61], v[47:48], off offset:408
	global_load_dwordx4 v[62:65], v62, s[8:9] offset:408
	v_cmp_lt_u32_e64 s1, 0x43, v32
	v_mov_b32_e32 v48, 0x660
	v_mul_u32_u24_e32 v66, 0x660, v66
	v_mul_u32_u24_e32 v67, 0x660, v67
	v_lshlrev_b32_e32 v71, 3, v71
	v_cndmask_b32_e64 v47, 0, 0x660, s1
	v_mul_u32_u24_sdwa v48, v72, v48 dst_sel:DWORD dst_unused:UNUSED_PAD src0_sel:WORD_0 src1_sel:DWORD
	v_lshlrev_b32_sdwa v68, v41, v68 dst_sel:DWORD dst_unused:UNUSED_PAD src0_sel:DWORD src1_sel:WORD_0
	v_lshlrev_b32_sdwa v69, v41, v69 dst_sel:DWORD dst_unused:UNUSED_PAD src0_sel:DWORD src1_sel:WORD_0
	;; [unrolled: 1-line block ×3, first 2 shown]
	v_lshlrev_b32_sdwa v41, v41, v49 dst_sel:DWORD dst_unused:UNUSED_PAD src0_sel:DWORD src1_sel:BYTE_0
	v_add3_u32 v47, 0, v47, v71
	v_add3_u32 v33, 0, v33, v68
	;; [unrolled: 1-line block ×5, first 2 shown]
	s_waitcnt vmcnt(0) lgkmcnt(0)
	s_barrier
	buffer_gl0_inv
	v_mul_f32_e32 v48, v44, v19
	v_mul_f32_e32 v44, v44, v18
	;; [unrolled: 1-line block ×12, first 2 shown]
	v_fmac_f32_e32 v44, v43, v19
	v_fma_f32 v19, v45, v20, -v67
	v_fmac_f32_e32 v46, v45, v21
	v_fma_f32 v20, v50, v24, -v68
	;; [unrolled: 2-line block ×5, first 2 shown]
	v_mul_f32_e32 v24, v59, v3
	v_mul_f32_e32 v25, v59, v2
	;; [unrolled: 1-line block ×4, first 2 shown]
	v_fma_f32 v18, v43, v18, -v48
	v_fmac_f32_e32 v57, v39, v56
	v_mul_f32_e32 v38, v63, v17
	v_mul_f32_e32 v39, v63, v16
	v_mul_f32_e32 v43, v65, v15
	v_mul_f32_e32 v45, v65, v14
	v_sub_f32_e32 v52, v44, v46
	v_add_f32_e32 v54, v9, v44
	v_add_f32_e32 v44, v44, v46
	;; [unrolled: 1-line block ×4, first 2 shown]
	v_sub_f32_e32 v70, v22, v23
	v_fma_f32 v22, v58, v2, -v24
	v_fmac_f32_e32 v25, v58, v3
	v_fma_f32 v24, v60, v12, -v26
	v_fmac_f32_e32 v27, v60, v13
	v_add_f32_e32 v50, v18, v19
	v_sub_f32_e32 v61, v51, v53
	v_add_f32_e32 v63, v11, v51
	v_add_f32_e32 v51, v51, v53
	v_fma_f32 v16, v62, v16, -v38
	v_fmac_f32_e32 v39, v62, v17
	v_fma_f32 v26, v64, v14, -v43
	v_fmac_f32_e32 v45, v64, v15
	v_add_f32_e32 v48, v8, v18
	v_fma_f32 v9, -0.5, v44, v9
	v_add_f32_e32 v38, v22, v24
	v_sub_f32_e32 v43, v25, v27
	v_add_f32_e32 v44, v5, v25
	v_add_f32_e32 v25, v25, v27
	v_fma_f32 v8, -0.5, v50, v8
	v_add_f32_e32 v13, v63, v53
	v_fmac_f32_e32 v11, -0.5, v51
	v_add_f32_e32 v50, v16, v26
	v_sub_f32_e32 v51, v39, v45
	v_add_f32_e32 v53, v7, v39
	v_add_f32_e32 v39, v39, v45
	;; [unrolled: 1-line block ×3, first 2 shown]
	v_sub_f32_e32 v68, v55, v57
	v_add_f32_e32 v69, v1, v55
	v_add_f32_e32 v55, v55, v57
	;; [unrolled: 1-line block ×6, first 2 shown]
	v_sub_f32_e32 v46, v22, v24
	v_add_f32_e32 v48, v6, v16
	v_fma_f32 v4, -0.5, v38, v4
	v_fma_f32 v5, -0.5, v25, v5
	v_sub_f32_e32 v54, v16, v26
	v_fma_f32 v6, -0.5, v50, v6
	v_fmac_f32_e32 v7, -0.5, v39
	v_sub_f32_e32 v18, v18, v19
	v_add_f32_e32 v56, v10, v20
	v_sub_f32_e32 v20, v20, v21
	v_fma_f32 v10, -0.5, v59, v10
	v_fma_f32 v0, -0.5, v67, v0
	v_fmac_f32_e32 v1, -0.5, v55
	v_add_f32_e32 v22, v23, v24
	v_add_f32_e32 v23, v44, v27
	;; [unrolled: 1-line block ×3, first 2 shown]
	v_fmamk_f32 v26, v43, 0x3f5db3d7, v4
	v_fmamk_f32 v27, v46, 0xbf5db3d7, v5
	v_fmac_f32_e32 v4, 0xbf5db3d7, v43
	v_fmac_f32_e32 v5, 0x3f5db3d7, v46
	v_add_f32_e32 v25, v53, v45
	v_fmamk_f32 v38, v51, 0x3f5db3d7, v6
	v_fmamk_f32 v39, v54, 0xbf5db3d7, v7
	v_fmac_f32_e32 v6, 0xbf5db3d7, v51
	v_fmac_f32_e32 v7, 0x3f5db3d7, v54
	v_fmamk_f32 v16, v52, 0x3f5db3d7, v8
	v_fmamk_f32 v17, v18, 0xbf5db3d7, v9
	v_add_f32_e32 v12, v56, v21
	v_add_f32_e32 v15, v69, v57
	v_fmac_f32_e32 v8, 0xbf5db3d7, v52
	v_fmac_f32_e32 v9, 0x3f5db3d7, v18
	v_fmamk_f32 v18, v61, 0x3f5db3d7, v10
	v_fmac_f32_e32 v10, 0xbf5db3d7, v61
	v_fmamk_f32 v19, v20, 0xbf5db3d7, v11
	;; [unrolled: 2-line block ×4, first 2 shown]
	v_fmac_f32_e32 v1, 0x3f5db3d7, v70
	ds_write2_b64 v47, v[22:23], v[26:27] offset1:68
	ds_write_b64 v47, v[4:5] offset:1088
	ds_write2_b64 v41, v[24:25], v[38:39] offset1:68
	ds_write_b64 v41, v[6:7] offset:1088
	;; [unrolled: 2-line block ×5, first 2 shown]
	s_and_saveexec_b32 s1, s0
	s_cbranch_execz .LBB0_17
; %bb.16:
	v_mov_b32_e32 v0, 0xf0f1
	v_mul_u32_u24_sdwa v0, v40, v0 dst_sel:DWORD dst_unused:UNUSED_PAD src0_sel:WORD_0 src1_sel:DWORD
	v_lshrrev_b32_e32 v0, 22, v0
	v_mul_lo_u16 v0, 0x44, v0
	v_sub_nc_u16 v0, v40, v0
	v_and_b32_e32 v4, 0xffff, v0
	v_lshlrev_b32_e32 v0, 4, v4
	v_lshl_add_u32 v8, v4, 3, 0
	global_load_dwordx4 v[0:3], v0, s[8:9] offset:408
	v_add_nc_u32_e32 v9, 0x2800, v8
	s_waitcnt vmcnt(0)
	v_mul_f32_e32 v5, v37, v1
	v_mul_f32_e32 v6, v36, v1
	;; [unrolled: 1-line block ×4, first 2 shown]
	v_fma_f32 v3, v36, v0, -v5
	v_fmac_f32_e32 v6, v37, v0
	v_fmac_f32_e32 v7, v31, v2
	v_fma_f32 v2, v30, v2, -v1
	v_add_f32_e32 v11, v28, v3
	v_add_f32_e32 v10, v29, v6
	;; [unrolled: 1-line block ×4, first 2 shown]
	v_sub_f32_e32 v4, v3, v2
	v_sub_f32_e32 v6, v6, v7
	v_add_f32_e32 v3, v10, v7
	v_fma_f32 v1, -0.5, v0, v29
	v_fma_f32 v0, -0.5, v5, v28
	v_add_f32_e32 v2, v11, v2
	v_fmamk_f32 v5, v4, 0x3f5db3d7, v1
	v_fmac_f32_e32 v1, 0xbf5db3d7, v4
	v_fmamk_f32 v4, v6, 0xbf5db3d7, v0
	v_fmac_f32_e32 v0, 0x3f5db3d7, v6
	ds_write2_b64 v9, v[2:3], v[0:1] offset0:148 offset1:216
	ds_write_b64 v8, v[4:5] offset:12512
.LBB0_17:
	s_or_b32 exec_lo, exec_lo, s1
	v_mul_u32_u24_e32 v0, 7, v32
	s_waitcnt lgkmcnt(0)
	s_barrier
	buffer_gl0_inv
	v_add_nc_u32_e32 v33, 0x400, v42
	v_lshlrev_b32_e32 v12, 3, v0
	v_add_nc_u32_e32 v65, 0x800, v42
	v_add_nc_u32_e32 v66, 0x1000, v42
	;; [unrolled: 1-line block ×4, first 2 shown]
	v_add_co_u32 v14, s0, s8, v12
	v_add_co_ci_u32_e64 v15, null, s9, 0, s0
	s_clause 0x3
	global_load_dwordx4 v[0:3], v12, s[8:9] offset:1496
	global_load_dwordx4 v[4:7], v12, s[8:9] offset:1512
	;; [unrolled: 1-line block ×3, first 2 shown]
	global_load_dwordx2 v[40:41], v12, s[8:9] offset:1544
	v_add_co_u32 v12, s0, 0x1800, v14
	v_add_co_ci_u32_e64 v13, s0, 0, v15, s0
	v_add_co_u32 v24, s0, 0x1c28, v14
	v_add_co_ci_u32_e64 v25, s0, 0, v15, s0
	v_add_nc_u32_e32 v69, 0x2400, v42
	s_clause 0x3
	global_load_dwordx4 v[12:15], v[12:13], off offset:1064
	global_load_dwordx4 v[16:19], v[24:25], off offset:16
	;; [unrolled: 1-line block ×3, first 2 shown]
	global_load_dwordx2 v[63:64], v[24:25], off offset:48
	v_add_nc_u32_e32 v70, 0x2800, v42
	ds_read2_b64 v[24:27], v33 offset0:76 offset1:178
	ds_read2_b64 v[28:31], v65 offset0:152 offset1:254
	;; [unrolled: 1-line block ×7, first 2 shown]
	ds_read2_b64 v[59:62], v42 offset1:102
	s_waitcnt vmcnt(0) lgkmcnt(0)
	s_barrier
	buffer_gl0_inv
	s_add_u32 s1, s8, 0x3278
	s_addc_u32 s4, s9, 0
	s_mov_b32 s5, exec_lo
	v_mul_f32_e32 v71, v1, v25
	v_mul_f32_e32 v1, v1, v24
	;; [unrolled: 1-line block ×14, first 2 shown]
	v_fma_f32 v24, v0, v24, -v71
	v_fmac_f32_e32 v1, v0, v25
	v_fma_f32 v0, v2, v28, -v72
	v_fmac_f32_e32 v3, v2, v29
	;; [unrolled: 2-line block ×7, first 2 shown]
	v_mul_f32_e32 v25, v27, v13
	v_mul_f32_e32 v13, v26, v13
	;; [unrolled: 1-line block ×14, first 2 shown]
	v_sub_f32_e32 v4, v59, v4
	v_sub_f32_e32 v7, v60, v7
	;; [unrolled: 1-line block ×8, first 2 shown]
	v_fma_f32 v25, v26, v12, -v25
	v_fmac_f32_e32 v13, v27, v12
	v_fma_f32 v12, v30, v14, -v28
	v_fmac_f32_e32 v15, v31, v14
	;; [unrolled: 2-line block ×7, first 2 shown]
	v_fma_f32 v26, v59, 2.0, -v4
	v_fma_f32 v27, v60, 2.0, -v7
	;; [unrolled: 1-line block ×8, first 2 shown]
	v_sub_f32_e32 v11, v4, v11
	v_add_f32_e32 v29, v7, v8
	v_sub_f32_e32 v8, v6, v41
	v_add_f32_e32 v10, v9, v10
	v_sub_f32_e32 v30, v26, v0
	v_sub_f32_e32 v31, v27, v3
	v_fma_f32 v36, v4, 2.0, -v11
	v_fma_f32 v37, v7, 2.0, -v29
	v_sub_f32_e32 v5, v24, v1
	v_sub_f32_e32 v4, v28, v2
	v_fma_f32 v38, v6, 2.0, -v8
	v_sub_f32_e32 v16, v61, v16
	v_sub_f32_e32 v19, v62, v19
	v_sub_f32_e32 v6, v12, v20
	v_sub_f32_e32 v7, v15, v23
	v_sub_f32_e32 v18, v25, v18
	v_sub_f32_e32 v20, v13, v21
	v_sub_f32_e32 v21, v14, v22
	v_sub_f32_e32 v22, v17, v44
	v_fma_f32 v9, v9, 2.0, -v10
	v_fmamk_f32 v0, v8, 0x3f3504f3, v11
	v_fmamk_f32 v1, v10, 0x3f3504f3, v29
	v_fma_f32 v23, v26, 2.0, -v30
	v_fma_f32 v26, v27, 2.0, -v31
	;; [unrolled: 1-line block ×4, first 2 shown]
	v_fmamk_f32 v2, v38, 0xbf3504f3, v36
	v_add_f32_e32 v5, v31, v5
	v_fma_f32 v28, v61, 2.0, -v16
	v_fma_f32 v39, v62, 2.0, -v19
	;; [unrolled: 1-line block ×8, first 2 shown]
	v_fmamk_f32 v3, v9, 0xbf3504f3, v37
	v_sub_f32_e32 v4, v30, v4
	v_fmac_f32_e32 v0, 0xbf3504f3, v10
	v_fmac_f32_e32 v1, 0x3f3504f3, v8
	v_sub_f32_e32 v41, v16, v7
	v_add_f32_e32 v43, v19, v6
	v_sub_f32_e32 v22, v18, v22
	v_add_f32_e32 v44, v20, v21
	v_sub_f32_e32 v6, v23, v24
	v_sub_f32_e32 v7, v26, v27
	v_fmac_f32_e32 v2, 0xbf3504f3, v9
	v_fma_f32 v9, v31, 2.0, -v5
	v_sub_f32_e32 v24, v28, v12
	v_sub_f32_e32 v27, v39, v15
	;; [unrolled: 1-line block ×4, first 2 shown]
	v_fmac_f32_e32 v3, 0x3f3504f3, v38
	v_fma_f32 v8, v30, 2.0, -v4
	v_fma_f32 v10, v11, 2.0, -v0
	;; [unrolled: 1-line block ×7, first 2 shown]
	v_fmamk_f32 v12, v22, 0x3f3504f3, v41
	v_fmamk_f32 v13, v44, 0x3f3504f3, v43
	v_fma_f32 v14, v23, 2.0, -v6
	v_fma_f32 v16, v36, 2.0, -v2
	;; [unrolled: 1-line block ×6, first 2 shown]
	v_fmamk_f32 v18, v38, 0xbf3504f3, v29
	v_fmamk_f32 v19, v45, 0xbf3504f3, v30
	v_sub_f32_e32 v20, v24, v31
	v_add_f32_e32 v21, v27, v21
	v_fmac_f32_e32 v12, 0xbf3504f3, v44
	v_fmac_f32_e32 v13, 0x3f3504f3, v22
	v_sub_f32_e32 v22, v28, v23
	v_sub_f32_e32 v23, v36, v25
	v_fmac_f32_e32 v18, 0xbf3504f3, v45
	v_fmac_f32_e32 v19, 0x3f3504f3, v38
	v_fma_f32 v24, v24, 2.0, -v20
	v_fma_f32 v25, v27, 2.0, -v21
	;; [unrolled: 1-line block ×5, first 2 shown]
	ds_write2_b64 v69, v[4:5], v[20:21] offset0:72 offset1:174
	ds_write2_b64 v70, v[0:1], v[12:13] offset0:148 offset1:250
	v_fma_f32 v0, v28, 2.0, -v22
	v_fma_f32 v1, v36, 2.0, -v23
	;; [unrolled: 1-line block ×5, first 2 shown]
	ds_write2_b64 v65, v[8:9], v[24:25] offset0:152 offset1:254
	ds_write2_b64 v66, v[10:11], v[26:27] offset0:100 offset1:202
	;; [unrolled: 1-line block ×4, first 2 shown]
	ds_write2_b64 v42, v[14:15], v[0:1] offset1:102
	ds_write2_b64 v33, v[16:17], v[4:5] offset0:76 offset1:178
	s_waitcnt lgkmcnt(0)
	s_barrier
	buffer_gl0_inv
	ds_read_b64 v[0:1], v42
	v_lshlrev_b32_e32 v2, 3, v32
                                        ; implicit-def: $vgpr7
                                        ; implicit-def: $vgpr8
                                        ; implicit-def: $vgpr4_vgpr5
	v_sub_nc_u32_e32 v6, 0, v2
                                        ; implicit-def: $vgpr2
	v_cmpx_ne_u32_e32 0, v32
	s_xor_b32 s5, exec_lo, s5
	s_cbranch_execz .LBB0_19
; %bb.18:
	v_mov_b32_e32 v33, 0
	ds_read_b64 v[4:5], v6 offset:13056
	v_lshlrev_b64 v[2:3], 3, v[32:33]
	v_add_co_u32 v2, s0, s1, v2
	v_add_co_ci_u32_e64 v3, s0, s4, v3, s0
	global_load_dwordx2 v[2:3], v[2:3], off
	s_waitcnt lgkmcnt(0)
	v_sub_f32_e32 v7, v0, v4
	v_add_f32_e32 v8, v5, v1
	v_sub_f32_e32 v1, v1, v5
	v_add_f32_e32 v0, v4, v0
	v_mul_f32_e32 v5, 0.5, v7
	v_mul_f32_e32 v9, 0.5, v8
	;; [unrolled: 1-line block ×3, first 2 shown]
	s_waitcnt vmcnt(0)
	v_mul_f32_e32 v4, v3, v5
	v_fma_f32 v8, v9, v3, v1
	v_fma_f32 v1, v9, v3, -v1
	v_fma_f32 v7, 0.5, v0, v4
	v_fma_f32 v0, v0, 0.5, -v4
	v_fma_f32 v8, -v2, v5, v8
	v_fma_f32 v3, -v2, v5, v1
	v_mov_b32_e32 v4, v32
	v_fmac_f32_e32 v7, v2, v9
	v_fma_f32 v2, -v2, v9, v0
	v_mov_b32_e32 v5, v33
                                        ; implicit-def: $vgpr0_vgpr1
.LBB0_19:
	s_andn2_saveexec_b32 s0, s5
	s_cbranch_execz .LBB0_21
; %bb.20:
	v_mov_b32_e32 v8, 0
	v_mov_b32_e32 v4, 0
	s_waitcnt lgkmcnt(0)
	v_add_f32_e32 v7, v0, v1
	v_sub_f32_e32 v2, v0, v1
	v_mov_b32_e32 v5, 0
	ds_read_b32 v3, v8 offset:6532
	s_waitcnt lgkmcnt(0)
	v_xor_b32_e32 v0, 0x80000000, v3
	v_mov_b32_e32 v3, 0
	ds_write_b32 v8, v0 offset:6532
.LBB0_21:
	s_or_b32 exec_lo, exec_lo, s0
	s_waitcnt lgkmcnt(0)
	v_lshlrev_b64 v[0:1], 3, v[4:5]
	v_add_co_u32 v4, s0, s1, v0
	v_add_co_ci_u32_e64 v5, s0, s4, v1, s0
	s_clause 0x1
	global_load_dwordx2 v[9:10], v[4:5], off offset:816
	global_load_dwordx2 v[11:12], v[4:5], off offset:1632
	v_add_co_u32 v13, s0, 0x800, v4
	v_add_co_ci_u32_e64 v14, s0, 0, v5, s0
	s_clause 0x2
	global_load_dwordx2 v[15:16], v[13:14], off offset:400
	global_load_dwordx2 v[17:18], v[13:14], off offset:1216
	;; [unrolled: 1-line block ×3, first 2 shown]
	v_add_co_u32 v4, s0, 0x1000, v4
	v_add_co_ci_u32_e64 v5, s0, 0, v5, s0
	global_load_dwordx2 v[19:20], v[4:5], off offset:800
	ds_write2_b32 v42, v7, v8 offset1:1
	ds_write_b64 v6, v[2:3] offset:13056
	global_load_dwordx2 v[7:8], v[4:5], off offset:1616
	ds_read_b64 v[2:3], v42 offset:816
	ds_read_b64 v[4:5], v6 offset:12240
	s_waitcnt lgkmcnt(0)
	v_sub_f32_e32 v21, v2, v4
	v_add_f32_e32 v22, v3, v5
	v_sub_f32_e32 v3, v3, v5
	v_add_f32_e32 v2, v2, v4
	v_mul_f32_e32 v5, 0.5, v21
	v_mul_f32_e32 v21, 0.5, v22
	;; [unrolled: 1-line block ×3, first 2 shown]
	s_waitcnt vmcnt(6)
	v_mul_f32_e32 v4, v10, v5
	v_fma_f32 v22, v21, v10, v3
	v_fma_f32 v3, v21, v10, -v3
	v_fma_f32 v10, 0.5, v2, v4
	v_fma_f32 v2, v2, 0.5, -v4
	v_fma_f32 v4, -v9, v5, v22
	v_fma_f32 v3, -v9, v5, v3
	v_fmac_f32_e32 v10, v9, v21
	v_fma_f32 v2, -v9, v21, v2
	ds_write2_b32 v42, v10, v4 offset0:204 offset1:205
	ds_write_b64 v6, v[2:3] offset:12240
	ds_read_b64 v[2:3], v42 offset:1632
	ds_read_b64 v[4:5], v6 offset:11424
	s_waitcnt lgkmcnt(0)
	v_sub_f32_e32 v9, v2, v4
	v_add_f32_e32 v10, v3, v5
	v_sub_f32_e32 v3, v3, v5
	v_add_f32_e32 v2, v2, v4
	v_mul_f32_e32 v5, 0.5, v9
	v_mul_f32_e32 v9, 0.5, v10
	;; [unrolled: 1-line block ×3, first 2 shown]
	s_waitcnt vmcnt(5)
	v_mul_f32_e32 v4, v12, v5
	v_fma_f32 v10, v9, v12, v3
	v_fma_f32 v3, v9, v12, -v3
	v_fma_f32 v12, 0.5, v2, v4
	v_fma_f32 v21, v2, 0.5, -v4
	v_add_nc_u32_e32 v2, 0x400, v42
	v_fma_f32 v10, -v11, v5, v10
	v_fma_f32 v4, -v11, v5, v3
	v_fmac_f32_e32 v12, v11, v9
	v_fma_f32 v3, -v11, v9, v21
	ds_write2_b32 v2, v12, v10 offset0:152 offset1:153
	ds_write_b64 v6, v[3:4] offset:11424
	ds_read_b64 v[3:4], v42 offset:2448
	ds_read_b64 v[9:10], v6 offset:10608
	s_waitcnt lgkmcnt(0)
	v_sub_f32_e32 v5, v3, v9
	v_add_f32_e32 v11, v4, v10
	v_sub_f32_e32 v4, v4, v10
	v_add_f32_e32 v3, v3, v9
	v_mul_f32_e32 v5, 0.5, v5
	v_mul_f32_e32 v10, 0.5, v11
	;; [unrolled: 1-line block ×3, first 2 shown]
	s_waitcnt vmcnt(4)
	v_mul_f32_e32 v9, v16, v5
	v_fma_f32 v11, v10, v16, v4
	v_fma_f32 v4, v10, v16, -v4
	v_add_nc_u32_e32 v16, 0xc00, v42
	v_fma_f32 v12, 0.5, v3, v9
	v_fma_f32 v9, v3, 0.5, -v9
	v_add_nc_u32_e32 v3, 0x800, v42
	v_fma_f32 v11, -v15, v5, v11
	v_fma_f32 v5, -v15, v5, v4
	v_fmac_f32_e32 v12, v15, v10
	v_fma_f32 v4, -v15, v10, v9
	ds_write2_b32 v3, v12, v11 offset0:100 offset1:101
	ds_write_b64 v6, v[4:5] offset:10608
	ds_read_b64 v[4:5], v42 offset:3264
	ds_read_b64 v[9:10], v6 offset:9792
	s_waitcnt lgkmcnt(0)
	v_sub_f32_e32 v11, v4, v9
	v_add_f32_e32 v12, v5, v10
	v_sub_f32_e32 v5, v5, v10
	v_add_f32_e32 v4, v4, v9
	v_mul_f32_e32 v10, 0.5, v11
	v_mul_f32_e32 v11, 0.5, v12
	;; [unrolled: 1-line block ×3, first 2 shown]
	s_waitcnt vmcnt(3)
	v_mul_f32_e32 v9, v18, v10
	v_fma_f32 v12, v11, v18, v5
	v_fma_f32 v5, v11, v18, -v5
	v_fma_f32 v15, 0.5, v4, v9
	v_fma_f32 v4, v4, 0.5, -v9
	v_fma_f32 v9, -v17, v10, v12
	v_fma_f32 v5, -v17, v10, v5
	v_fmac_f32_e32 v15, v17, v11
	v_fma_f32 v4, -v17, v11, v4
	ds_write2_b32 v16, v15, v9 offset0:48 offset1:49
	ds_write_b64 v6, v[4:5] offset:9792
	ds_read_b64 v[4:5], v42 offset:4080
	ds_read_b64 v[9:10], v6 offset:8976
	s_waitcnt lgkmcnt(0)
	v_sub_f32_e32 v11, v4, v9
	v_add_f32_e32 v12, v5, v10
	v_sub_f32_e32 v5, v5, v10
	v_add_f32_e32 v4, v4, v9
	v_mul_f32_e32 v10, 0.5, v11
	v_mul_f32_e32 v11, 0.5, v12
	;; [unrolled: 1-line block ×3, first 2 shown]
	s_waitcnt vmcnt(2)
	v_mul_f32_e32 v9, v14, v10
	v_fma_f32 v12, v11, v14, v5
	v_fma_f32 v5, v11, v14, -v5
	v_fma_f32 v14, 0.5, v4, v9
	v_fma_f32 v4, v4, 0.5, -v9
	v_fma_f32 v9, -v13, v10, v12
	v_fma_f32 v5, -v13, v10, v5
	v_fmac_f32_e32 v14, v13, v11
	v_fma_f32 v4, -v13, v11, v4
	ds_write2_b32 v16, v14, v9 offset0:252 offset1:253
	ds_write_b64 v6, v[4:5] offset:8976
	ds_read_b64 v[4:5], v42 offset:4896
	ds_read_b64 v[9:10], v6 offset:8160
	s_waitcnt lgkmcnt(0)
	v_sub_f32_e32 v11, v4, v9
	v_add_f32_e32 v12, v5, v10
	v_sub_f32_e32 v5, v5, v10
	v_add_f32_e32 v4, v4, v9
	v_mul_f32_e32 v10, 0.5, v11
	v_mul_f32_e32 v11, 0.5, v12
	;; [unrolled: 1-line block ×3, first 2 shown]
	s_waitcnt vmcnt(1)
	v_mul_f32_e32 v9, v20, v10
	v_fma_f32 v12, v11, v20, v5
	v_fma_f32 v13, v11, v20, -v5
	v_add_nc_u32_e32 v5, 0x1000, v42
	v_fma_f32 v14, 0.5, v4, v9
	v_fma_f32 v4, v4, 0.5, -v9
	v_fma_f32 v12, -v19, v10, v12
	v_fma_f32 v10, -v19, v10, v13
	v_fmac_f32_e32 v14, v19, v11
	v_fma_f32 v9, -v19, v11, v4
	ds_write2_b32 v5, v14, v12 offset0:200 offset1:201
	ds_write_b64 v6, v[9:10] offset:8160
	ds_read_b64 v[9:10], v42 offset:5712
	ds_read_b64 v[11:12], v6 offset:7344
	s_waitcnt lgkmcnt(0)
	v_sub_f32_e32 v4, v9, v11
	v_add_f32_e32 v13, v10, v12
	v_sub_f32_e32 v10, v10, v12
	v_add_f32_e32 v9, v9, v11
	v_mul_f32_e32 v4, 0.5, v4
	v_mul_f32_e32 v12, 0.5, v13
	;; [unrolled: 1-line block ×3, first 2 shown]
	s_waitcnt vmcnt(0)
	v_mul_f32_e32 v11, v8, v4
	v_fma_f32 v13, v12, v8, v10
	v_fma_f32 v8, v12, v8, -v10
	v_fma_f32 v10, 0.5, v9, v11
	v_fma_f32 v9, v9, 0.5, -v11
	v_add_nc_u32_e32 v11, 0x1400, v42
	v_fma_f32 v13, -v7, v4, v13
	v_fma_f32 v8, -v7, v4, v8
	v_fmac_f32_e32 v10, v7, v12
	v_fma_f32 v7, -v7, v12, v9
	ds_write2_b32 v11, v10, v13 offset0:148 offset1:149
	ds_write_b64 v6, v[7:8] offset:7344
	s_waitcnt lgkmcnt(0)
	s_barrier
	buffer_gl0_inv
	s_and_saveexec_b32 s0, vcc_lo
	s_cbranch_execz .LBB0_24
; %bb.22:
	ds_read2_b64 v[6:9], v42 offset1:102
	ds_read2_b64 v[10:13], v2 offset0:76 offset1:178
	v_add_co_u32 v2, vcc_lo, s2, v34
	v_add_co_ci_u32_e32 v4, vcc_lo, s3, v35, vcc_lo
	ds_read2_b64 v[14:17], v3 offset0:152 offset1:254
	ds_read2_b64 v[18:21], v5 offset0:100 offset1:202
	v_add_co_u32 v0, vcc_lo, v2, v0
	v_add_co_ci_u32_e32 v1, vcc_lo, v4, v1, vcc_lo
	v_add_nc_u32_e32 v3, 0x1800, v42
	v_add_co_u32 v30, vcc_lo, 0x800, v0
	v_add_co_ci_u32_e32 v31, vcc_lo, 0, v1, vcc_lo
	ds_read2_b64 v[22:25], v3 offset0:48 offset1:150
	v_add_nc_u32_e32 v3, 0x1c00, v42
	v_add_co_u32 v33, vcc_lo, 0x1000, v0
	v_add_co_ci_u32_e32 v34, vcc_lo, 0, v1, vcc_lo
	s_waitcnt lgkmcnt(4)
	global_store_dwordx2 v[0:1], v[6:7], off
	global_store_dwordx2 v[0:1], v[8:9], off offset:816
	s_waitcnt lgkmcnt(3)
	global_store_dwordx2 v[0:1], v[10:11], off offset:1632
	global_store_dwordx2 v[30:31], v[12:13], off offset:400
	v_add_nc_u32_e32 v9, 0x2400, v42
	v_add_co_u32 v35, vcc_lo, 0x1800, v0
	ds_read2_b64 v[5:8], v3 offset0:124 offset1:226
	ds_read2_b64 v[9:12], v9 offset0:72 offset1:174
	v_add_nc_u32_e32 v3, 0x2800, v42
	v_add_co_ci_u32_e32 v36, vcc_lo, 0, v1, vcc_lo
	v_add_co_u32 v13, vcc_lo, 0x2000, v0
	ds_read2_b64 v[26:29], v3 offset0:148 offset1:250
	s_waitcnt lgkmcnt(5)
	global_store_dwordx2 v[30:31], v[14:15], off offset:1216
	global_store_dwordx2 v[30:31], v[16:17], off offset:2032
	s_waitcnt lgkmcnt(4)
	global_store_dwordx2 v[33:34], v[18:19], off offset:800
	global_store_dwordx2 v[33:34], v[20:21], off offset:1616
	;; [unrolled: 3-line block ×3, first 2 shown]
	v_add_co_ci_u32_e32 v14, vcc_lo, 0, v1, vcc_lo
	v_add_co_u32 v0, vcc_lo, 0x2800, v0
	v_add_co_ci_u32_e32 v1, vcc_lo, 0, v1, vcc_lo
	v_cmp_eq_u32_e32 vcc_lo, 0x65, v32
	s_waitcnt lgkmcnt(2)
	global_store_dwordx2 v[35:36], v[5:6], off offset:2016
	global_store_dwordx2 v[13:14], v[7:8], off offset:784
	s_waitcnt lgkmcnt(1)
	global_store_dwordx2 v[13:14], v[9:10], off offset:1600
	global_store_dwordx2 v[0:1], v[11:12], off offset:368
	s_waitcnt lgkmcnt(0)
	global_store_dwordx2 v[0:1], v[26:27], off offset:1184
	global_store_dwordx2 v[0:1], v[28:29], off offset:2000
	s_and_b32 exec_lo, exec_lo, vcc_lo
	s_cbranch_execz .LBB0_24
; %bb.23:
	v_mov_b32_e32 v0, 0
	v_add_co_u32 v2, vcc_lo, 0x3000, v2
	v_add_co_ci_u32_e32 v3, vcc_lo, 0, v4, vcc_lo
	ds_read_b64 v[0:1], v0 offset:13056
	s_waitcnt lgkmcnt(0)
	global_store_dwordx2 v[2:3], v[0:1], off offset:768
.LBB0_24:
	s_endpgm
	.section	.rodata,"a",@progbits
	.p2align	6, 0x0
	.amdhsa_kernel fft_rtc_fwd_len1632_factors_17_2_2_3_8_wgs_102_tpt_102_halfLds_sp_ip_CI_unitstride_sbrr_R2C_dirReg
		.amdhsa_group_segment_fixed_size 0
		.amdhsa_private_segment_fixed_size 0
		.amdhsa_kernarg_size 88
		.amdhsa_user_sgpr_count 6
		.amdhsa_user_sgpr_private_segment_buffer 1
		.amdhsa_user_sgpr_dispatch_ptr 0
		.amdhsa_user_sgpr_queue_ptr 0
		.amdhsa_user_sgpr_kernarg_segment_ptr 1
		.amdhsa_user_sgpr_dispatch_id 0
		.amdhsa_user_sgpr_flat_scratch_init 0
		.amdhsa_user_sgpr_private_segment_size 0
		.amdhsa_wavefront_size32 1
		.amdhsa_uses_dynamic_stack 0
		.amdhsa_system_sgpr_private_segment_wavefront_offset 0
		.amdhsa_system_sgpr_workgroup_id_x 1
		.amdhsa_system_sgpr_workgroup_id_y 0
		.amdhsa_system_sgpr_workgroup_id_z 0
		.amdhsa_system_sgpr_workgroup_info 0
		.amdhsa_system_vgpr_workitem_id 0
		.amdhsa_next_free_vgpr 195
		.amdhsa_next_free_sgpr 21
		.amdhsa_reserve_vcc 1
		.amdhsa_reserve_flat_scratch 0
		.amdhsa_float_round_mode_32 0
		.amdhsa_float_round_mode_16_64 0
		.amdhsa_float_denorm_mode_32 3
		.amdhsa_float_denorm_mode_16_64 3
		.amdhsa_dx10_clamp 1
		.amdhsa_ieee_mode 1
		.amdhsa_fp16_overflow 0
		.amdhsa_workgroup_processor_mode 1
		.amdhsa_memory_ordered 1
		.amdhsa_forward_progress 0
		.amdhsa_shared_vgpr_count 0
		.amdhsa_exception_fp_ieee_invalid_op 0
		.amdhsa_exception_fp_denorm_src 0
		.amdhsa_exception_fp_ieee_div_zero 0
		.amdhsa_exception_fp_ieee_overflow 0
		.amdhsa_exception_fp_ieee_underflow 0
		.amdhsa_exception_fp_ieee_inexact 0
		.amdhsa_exception_int_div_zero 0
	.end_amdhsa_kernel
	.text
.Lfunc_end0:
	.size	fft_rtc_fwd_len1632_factors_17_2_2_3_8_wgs_102_tpt_102_halfLds_sp_ip_CI_unitstride_sbrr_R2C_dirReg, .Lfunc_end0-fft_rtc_fwd_len1632_factors_17_2_2_3_8_wgs_102_tpt_102_halfLds_sp_ip_CI_unitstride_sbrr_R2C_dirReg
                                        ; -- End function
	.section	.AMDGPU.csdata,"",@progbits
; Kernel info:
; codeLenInByte = 13224
; NumSgprs: 23
; NumVgprs: 195
; ScratchSize: 0
; MemoryBound: 0
; FloatMode: 240
; IeeeMode: 1
; LDSByteSize: 0 bytes/workgroup (compile time only)
; SGPRBlocks: 2
; VGPRBlocks: 24
; NumSGPRsForWavesPerEU: 23
; NumVGPRsForWavesPerEU: 195
; Occupancy: 4
; WaveLimiterHint : 1
; COMPUTE_PGM_RSRC2:SCRATCH_EN: 0
; COMPUTE_PGM_RSRC2:USER_SGPR: 6
; COMPUTE_PGM_RSRC2:TRAP_HANDLER: 0
; COMPUTE_PGM_RSRC2:TGID_X_EN: 1
; COMPUTE_PGM_RSRC2:TGID_Y_EN: 0
; COMPUTE_PGM_RSRC2:TGID_Z_EN: 0
; COMPUTE_PGM_RSRC2:TIDIG_COMP_CNT: 0
	.text
	.p2alignl 6, 3214868480
	.fill 48, 4, 3214868480
	.type	__hip_cuid_f0f94e7c9c7bd4c9,@object ; @__hip_cuid_f0f94e7c9c7bd4c9
	.section	.bss,"aw",@nobits
	.globl	__hip_cuid_f0f94e7c9c7bd4c9
__hip_cuid_f0f94e7c9c7bd4c9:
	.byte	0                               ; 0x0
	.size	__hip_cuid_f0f94e7c9c7bd4c9, 1

	.ident	"AMD clang version 19.0.0git (https://github.com/RadeonOpenCompute/llvm-project roc-6.4.0 25133 c7fe45cf4b819c5991fe208aaa96edf142730f1d)"
	.section	".note.GNU-stack","",@progbits
	.addrsig
	.addrsig_sym __hip_cuid_f0f94e7c9c7bd4c9
	.amdgpu_metadata
---
amdhsa.kernels:
  - .args:
      - .actual_access:  read_only
        .address_space:  global
        .offset:         0
        .size:           8
        .value_kind:     global_buffer
      - .offset:         8
        .size:           8
        .value_kind:     by_value
      - .actual_access:  read_only
        .address_space:  global
        .offset:         16
        .size:           8
        .value_kind:     global_buffer
      - .actual_access:  read_only
        .address_space:  global
        .offset:         24
        .size:           8
        .value_kind:     global_buffer
      - .offset:         32
        .size:           8
        .value_kind:     by_value
      - .actual_access:  read_only
        .address_space:  global
        .offset:         40
        .size:           8
        .value_kind:     global_buffer
      - .actual_access:  read_only
        .address_space:  global
        .offset:         48
        .size:           8
        .value_kind:     global_buffer
      - .offset:         56
        .size:           4
        .value_kind:     by_value
      - .actual_access:  read_only
        .address_space:  global
        .offset:         64
        .size:           8
        .value_kind:     global_buffer
      - .actual_access:  read_only
        .address_space:  global
        .offset:         72
        .size:           8
        .value_kind:     global_buffer
      - .address_space:  global
        .offset:         80
        .size:           8
        .value_kind:     global_buffer
    .group_segment_fixed_size: 0
    .kernarg_segment_align: 8
    .kernarg_segment_size: 88
    .language:       OpenCL C
    .language_version:
      - 2
      - 0
    .max_flat_workgroup_size: 102
    .name:           fft_rtc_fwd_len1632_factors_17_2_2_3_8_wgs_102_tpt_102_halfLds_sp_ip_CI_unitstride_sbrr_R2C_dirReg
    .private_segment_fixed_size: 0
    .sgpr_count:     23
    .sgpr_spill_count: 0
    .symbol:         fft_rtc_fwd_len1632_factors_17_2_2_3_8_wgs_102_tpt_102_halfLds_sp_ip_CI_unitstride_sbrr_R2C_dirReg.kd
    .uniform_work_group_size: 1
    .uses_dynamic_stack: false
    .vgpr_count:     195
    .vgpr_spill_count: 0
    .wavefront_size: 32
    .workgroup_processor_mode: 1
amdhsa.target:   amdgcn-amd-amdhsa--gfx1030
amdhsa.version:
  - 1
  - 2
...

	.end_amdgpu_metadata
